;; amdgpu-corpus repo=ROCm/Tensile kind=harvested arch=n/a opt=n/a

/******************************************/
/* Function Prefix                        */
/******************************************/



/******************************************/
/* Begin Kernel                           */
/******************************************/

// Component.Signature.SignatureDefault
.amdgcn_target "amdgcn-amd-amdhsa--gfx942"
.text
.protected Cijk_Alik_Bljk_F8F8S_BH_MT256x256x64_MI32x32x16x1_SN_1LDSB1_APM1_AF0EM1_AF1EM1_AMAS3_ASE_ASGT_ASLT_ASM_ASAE01_ASCE01_ASEM1_BL1_BS1_CLR0_DTVA0_DTVB0_ETSP_EPS1_ELFLR0_EMLL0_FSSC10_FL0_GLVWA16_GLVWB16_GRCGA1_GRPM1_GRVW16_GSU1_GSUASB_GLS0_IU1_K1_LBSPPA128_LBSPPB128_LPA16_LPB16_LRVW16_LWPMn1_MIAV0_MKFGSU256_NTA0_NTB0_NTC0_NTD0_NEPBS0_NLCA1_NLCB1_ONLL1_PGR2_PLR5_PKA0_SIA3_SLW1_SS1_SU32_SUM0_SUS128_SPO0_SRVW0_SSO0_SVW2_TSGRA0_TSGRB0_TT2_256_TLDS1_UMLDSA1_UMLDSB1_USFGROn1_VAW1_VSn1_VW2_VWB4_VFLRP0_WSGRA0_WSGRB0_WG128_2_1_WGM29
.globl Cijk_Alik_Bljk_F8F8S_BH_MT256x256x64_MI32x32x16x1_SN_1LDSB1_APM1_AF0EM1_AF1EM1_AMAS3_ASE_ASGT_ASLT_ASM_ASAE01_ASCE01_ASEM1_BL1_BS1_CLR0_DTVA0_DTVB0_ETSP_EPS1_ELFLR0_EMLL0_FSSC10_FL0_GLVWA16_GLVWB16_GRCGA1_GRPM1_GRVW16_GSU1_GSUASB_GLS0_IU1_K1_LBSPPA128_LBSPPB128_LPA16_LPB16_LRVW16_LWPMn1_MIAV0_MKFGSU256_NTA0_NTB0_NTC0_NTD0_NEPBS0_NLCA1_NLCB1_ONLL1_PGR2_PLR5_PKA0_SIA3_SLW1_SS1_SU32_SUM0_SUS128_SPO0_SRVW0_SSO0_SVW2_TSGRA0_TSGRB0_TT2_256_TLDS1_UMLDSA1_UMLDSB1_USFGROn1_VAW1_VSn1_VW2_VWB4_VFLRP0_WSGRA0_WSGRB0_WG128_2_1_WGM29
.p2align 8
.type Cijk_Alik_Bljk_F8F8S_BH_MT256x256x64_MI32x32x16x1_SN_1LDSB1_APM1_AF0EM1_AF1EM1_AMAS3_ASE_ASGT_ASLT_ASM_ASAE01_ASCE01_ASEM1_BL1_BS1_CLR0_DTVA0_DTVB0_ETSP_EPS1_ELFLR0_EMLL0_FSSC10_FL0_GLVWA16_GLVWB16_GRCGA1_GRPM1_GRVW16_GSU1_GSUASB_GLS0_IU1_K1_LBSPPA128_LBSPPB128_LPA16_LPB16_LRVW16_LWPMn1_MIAV0_MKFGSU256_NTA0_NTB0_NTC0_NTD0_NEPBS0_NLCA1_NLCB1_ONLL1_PGR2_PLR5_PKA0_SIA3_SLW1_SS1_SU32_SUM0_SUS128_SPO0_SRVW0_SSO0_SVW2_TSGRA0_TSGRB0_TT2_256_TLDS1_UMLDSA1_UMLDSB1_USFGROn1_VAW1_VSn1_VW2_VWB4_VFLRP0_WSGRA0_WSGRB0_WG128_2_1_WGM29,@function
.section .rodata,#alloc
.p2align 6
.amdhsa_kernel Cijk_Alik_Bljk_F8F8S_BH_MT256x256x64_MI32x32x16x1_SN_1LDSB1_APM1_AF0EM1_AF1EM1_AMAS3_ASE_ASGT_ASLT_ASM_ASAE01_ASCE01_ASEM1_BL1_BS1_CLR0_DTVA0_DTVB0_ETSP_EPS1_ELFLR0_EMLL0_FSSC10_FL0_GLVWA16_GLVWB16_GRCGA1_GRPM1_GRVW16_GSU1_GSUASB_GLS0_IU1_K1_LBSPPA128_LBSPPB128_LPA16_LPB16_LRVW16_LWPMn1_MIAV0_MKFGSU256_NTA0_NTB0_NTC0_NTD0_NEPBS0_NLCA1_NLCB1_ONLL1_PGR2_PLR5_PKA0_SIA3_SLW1_SS1_SU32_SUM0_SUS128_SPO0_SRVW0_SSO0_SVW2_TSGRA0_TSGRB0_TT2_256_TLDS1_UMLDSA1_UMLDSB1_USFGROn1_VAW1_VSn1_VW2_VWB4_VFLRP0_WSGRA0_WSGRB0_WG128_2_1_WGM29
  .amdhsa_user_sgpr_kernarg_segment_ptr 1
  .amdhsa_user_sgpr_kernarg_preload_offset 0
  .amdhsa_user_sgpr_kernarg_preload_length 0
  .amdhsa_user_sgpr_count 2
  .amdhsa_accum_offset 256 // accvgpr offset
  .amdhsa_next_free_vgpr 512 // vgprs
  .amdhsa_next_free_sgpr 69 // sgprs
  .amdhsa_group_segment_fixed_size 36864 // lds bytes
  .amdhsa_private_segment_fixed_size 0
  .amdhsa_system_sgpr_workgroup_id_x 1
  .amdhsa_system_sgpr_workgroup_id_y 1
  .amdhsa_system_sgpr_workgroup_id_z 1
  .amdhsa_system_vgpr_workitem_id 0
  .amdhsa_float_denorm_mode_32 3
  .amdhsa_float_denorm_mode_16_64 3
.end_amdhsa_kernel
.text

/******************************************/
/* Optimizations and Config:              */
/******************************************/
/* ThreadTile= 32 x 8 */
/* SubGroup= 8 x 32 */
/* VectorWidthA=2 */
/* VectorWidthB=4 */
/* GlobalLoadVectorWidthA=16, GlobalLoadVectorWidthB=16 */
/* DirectToLdsA=False */
/* DirectToLdsB=False */
/* UseSgprForGRO=1 */
.amdgpu_metadata
---
amdhsa.version:
  - 1
  - 1
amdhsa.target: amdgcn-amd-amdhsa--gfx942
amdhsa.kernels:
  - .name: Cijk_Alik_Bljk_F8F8S_BH_MT256x256x64_MI32x32x16x1_SN_1LDSB1_APM1_AF0EM1_AF1EM1_AMAS3_ASE_ASGT_ASLT_ASM_ASAE01_ASCE01_ASEM1_BL1_BS1_CLR0_DTVA0_DTVB0_ETSP_EPS1_ELFLR0_EMLL0_FSSC10_FL0_GLVWA16_GLVWB16_GRCGA1_GRPM1_GRVW16_GSU1_GSUASB_GLS0_IU1_K1_LBSPPA128_LBSPPB128_LPA16_LPB16_LRVW16_LWPMn1_MIAV0_MKFGSU256_NTA0_NTB0_NTC0_NTD0_NEPBS0_NLCA1_NLCB1_ONLL1_PGR2_PLR5_PKA0_SIA3_SLW1_SS1_SU32_SUM0_SUS128_SPO0_SRVW0_SSO0_SVW2_TSGRA0_TSGRB0_TT2_256_TLDS1_UMLDSA1_UMLDSB1_USFGROn1_VAW1_VSn1_VW2_VWB4_VFLRP0_WSGRA0_WSGRB0_WG128_2_1_WGM29
    .symbol: 'Cijk_Alik_Bljk_F8F8S_BH_MT256x256x64_MI32x32x16x1_SN_1LDSB1_APM1_AF0EM1_AF1EM1_AMAS3_ASE_ASGT_ASLT_ASM_ASAE01_ASCE01_ASEM1_BL1_BS1_CLR0_DTVA0_DTVB0_ETSP_EPS1_ELFLR0_EMLL0_FSSC10_FL0_GLVWA16_GLVWB16_GRCGA1_GRPM1_GRVW16_GSU1_GSUASB_GLS0_IU1_K1_LBSPPA128_LBSPPB128_LPA16_LPB16_LRVW16_LWPMn1_MIAV0_MKFGSU256_NTA0_NTB0_NTC0_NTD0_NEPBS0_NLCA1_NLCB1_ONLL1_PGR2_PLR5_PKA0_SIA3_SLW1_SS1_SU32_SUM0_SUS128_SPO0_SRVW0_SSO0_SVW2_TSGRA0_TSGRB0_TT2_256_TLDS1_UMLDSA1_UMLDSB1_USFGROn1_VAW1_VSn1_VW2_VWB4_VFLRP0_WSGRA0_WSGRB0_WG128_2_1_WGM29.kd'
    .language:                   OpenCL C
    .language_version:
      - 2
      - 0
    .args:
      - .name:            Tensor2dSizeA
        .size:            8
        .offset:          0
        .value_kind:      by_value
        .value_type:      u64
      - .name:            Tensor2dSizeB
        .size:            8
        .offset:          8
        .value_kind:      by_value
        .value_type:      u64
      - .name:            AddressD
        .size:            8
        .offset:          16
        .value_kind:      by_value
        .value_type:      u64
      - .name:            AddressC
        .size:            8
        .offset:          24
        .value_kind:      by_value
        .value_type:      u64
      - .name:            AddressA
        .size:            8
        .offset:          32
        .value_kind:      by_value
        .value_type:      u64
      - .name:            AddressB
        .size:            8
        .offset:          40
        .value_kind:      by_value
        .value_type:      u64
      - .name:            Alpha
        .size:            4
        .offset:          48
        .value_kind:      by_value
        .value_type:      u32
      - .name:            Beta
        .size:            4
        .offset:          52
        .value_kind:      by_value
        .value_type:      u32
      - .name:            StridesD
        .size:            8
        .offset:          56
        .value_kind:      by_value
        .value_type:      u64
      - .name:            StridesC
        .size:            8
        .offset:          64
        .value_kind:      by_value
        .value_type:      u64
      - .name:            StridesA
        .size:            8
        .offset:          72
        .value_kind:      by_value
        .value_type:      u64
      - .name:            StridesB
        .size:            8
        .offset:          80
        .value_kind:      by_value
        .value_type:      u64
      - .name:            SizesFree
        .size:            12
        .offset:          88
        .value_kind:      by_value
        .value_type:      u96
      - .name:            SizesSum
        .size:            4
        .offset:          100
        .value_kind:      by_value
        .value_type:      u32
      - .name:            OrigStaggerUIter
        .size:            4
        .offset:          104
        .value_kind:      by_value
        .value_type:      u32
      - .name:            NumWorkGroups0
        .size:            4
        .offset:          108
        .value_kind:      by_value
        .value_type:      u32
      - .name:            NumWorkGroups1
        .size:            4
        .offset:          112
        .value_kind:      by_value
        .value_type:      u32
      - .name:            NumFullBlocks
        .size:            4
        .offset:          116
        .value_kind:      by_value
        .value_type:      u32
      - .name:            WgmRemainder1
        .size:            4
        .offset:          120
        .value_kind:      by_value
        .value_type:      u32
      - .name:            MagicNumberWgmRemainder1
        .size:            4
        .offset:          124
        .value_kind:      by_value
        .value_type:      u32
    .group_segment_fixed_size:   36864
    .kernarg_segment_align:      8
    .kernarg_segment_size:       128
    .max_flat_workgroup_size:    256
    .private_segment_fixed_size: 0
    .sgpr_count:                 69
    .sgpr_spill_count:           0
    .vgpr_count:                 256
    .vgpr_spill_count:           0
    .wavefront_size:             64
...
.end_amdgpu_metadata
Cijk_Alik_Bljk_F8F8S_BH_MT256x256x64_MI32x32x16x1_SN_1LDSB1_APM1_AF0EM1_AF1EM1_AMAS3_ASE_ASGT_ASLT_ASM_ASAE01_ASCE01_ASEM1_BL1_BS1_CLR0_DTVA0_DTVB0_ETSP_EPS1_ELFLR0_EMLL0_FSSC10_FL0_GLVWA16_GLVWB16_GRCGA1_GRPM1_GRVW16_GSU1_GSUASB_GLS0_IU1_K1_LBSPPA128_LBSPPB128_LPA16_LPB16_LRVW16_LWPMn1_MIAV0_MKFGSU256_NTA0_NTB0_NTC0_NTD0_NEPBS0_NLCA1_NLCB1_ONLL1_PGR2_PLR5_PKA0_SIA3_SLW1_SS1_SU32_SUM0_SUS128_SPO0_SRVW0_SSO0_SVW2_TSGRA0_TSGRB0_TT2_256_TLDS1_UMLDSA1_UMLDSB1_USFGROn1_VAW1_VSn1_VW2_VWB4_VFLRP0_WSGRA0_WSGRB0_WG128_2_1_WGM29:

/******************************************/
/* Asm syntax workarounds                 */
/******************************************/
.macro _v_add_co_u32 dst:req, cc:req, src0:req, src1:req, dpp=
   v_add_co_u32 \dst, \cc, \src0, \src1 \dpp
.endm

.macro _v_add_u32 dst:req, src0:req, src1:req, dpp=
   v_add_u32 \dst, \src0, \src1 \dpp
.endm

.macro _v_add_i32 dst:req, src0:req, src1:req, dpp=
   v_add_i32 \dst, \src0, \src1 \dpp
.endm

.macro _v_addc_co_u32 dst:req, ccOut:req, src0:req, ccIn:req, src1:req, dpp=
   v_addc_co_u32 \dst, \ccOut, \src0, \ccIn, \src1 \dpp
.endm

.macro _v_sub_co_u32 dst:req, cc:req, src0:req, src1:req, dpp=
   v_sub_co_u32 \dst, \cc, \src0, \src1 \dpp
.endm

.macro _v_sub_u32 dst:req, src0:req, src1:req, dpp=
   v_sub_u32 \dst, \src0, \src1 \dpp
.endm

.macro _v_sub_i32 dst:req, src0:req, src1:req, dpp=
   v_sub_i32 \dst, \src0, \src1 \dpp
.endm

.macro _v_add_lshl_u32 dst:req, src0:req, src1:req, shiftCnt:req
    v_add_lshl_u32 \dst, \src0, \src1, \shiftCnt
.endm

.macro _v_lshl_add_u32 dst:req, src0:req, src1:req, shiftCnt:req
    v_lshl_add_u32 \dst, \src0, \src1, \shiftCnt
.endm

.macro _v_lshl_or_b32 dst:req, src0:req, shiftCnt:req, src1:req
    v_lshl_or_b32 \dst, \src0, \shiftCnt, \src1
.endm

.macro _v_dot2acc_f32_f16 dst, src0, src1
v_dot2c_f32_f16 \dst, \src0, \src1
.endm

.macro _v_cmpx_lt_i16 dst, src0, src1=
   v_cmpx_lt_i16 \dst, \src0, \src1 
.endm

.macro _v_cmpx_lt_i32 dst, src0, src1=
   v_cmpx_lt_i32 \dst, \src0, \src1 
.endm

.macro _v_cmpx_lt_i64 dst, src0, src1=
   v_cmpx_lt_i64 \dst, \src0, \src1 
.endm

.macro _v_cmpx_lt_u16 dst, src0, src1=
   v_cmpx_lt_u16 \dst, \src0, \src1 
.endm

.macro _v_cmpx_lt_u32 dst, src0, src1=
   v_cmpx_lt_u32 \dst, \src0, \src1 
.endm

.macro _v_cmpx_lt_u64 dst, src0, src1=
   v_cmpx_lt_u64 \dst, \src0, \src1 
.endm

.macro _v_cmpx_eq_i16 dst, src0, src1=
   v_cmpx_eq_i16 \dst, \src0, \src1 
.endm

.macro _v_cmpx_eq_i32 dst, src0, src1=
   v_cmpx_eq_i32 \dst, \src0, \src1 
.endm

.macro _v_cmpx_eq_i64 dst, src0, src1=
   v_cmpx_eq_i64 \dst, \src0, \src1 
.endm

.macro _v_cmpx_eq_u16 dst, src0, src1=
   v_cmpx_eq_u16 \dst, \src0, \src1 
.endm

.macro _v_cmpx_eq_u32 dst, src0, src1=
   v_cmpx_eq_u32 \dst, \src0, \src1 
.endm

.macro _v_cmpx_eq_u64 dst, src0, src1=
   v_cmpx_eq_u64 \dst, \src0, \src1 
.endm

.macro _v_cmpx_le_i16 dst, src0, src1=
   v_cmpx_le_i16 \dst, \src0, \src1 
.endm

.macro _v_cmpx_le_i32 dst, src0, src1=
   v_cmpx_le_i32 \dst, \src0, \src1 
.endm

.macro _v_cmpx_le_i64 dst, src0, src1=
   v_cmpx_le_i64 \dst, \src0, \src1 
.endm

.macro _v_cmpx_le_u16 dst, src0, src1=
   v_cmpx_le_u16 \dst, \src0, \src1 
.endm

.macro _v_cmpx_le_u32 dst, src0, src1=
   v_cmpx_le_u32 \dst, \src0, \src1 
.endm

.macro _v_cmpx_le_u64 dst, src0, src1=
   v_cmpx_le_u64 \dst, \src0, \src1 
.endm

.macro _v_cmpx_gt_i16 dst, src0, src1=
   v_cmpx_gt_i16 \dst, \src0, \src1 
.endm

.macro _v_cmpx_gt_i32 dst, src0, src1=
   v_cmpx_gt_i32 \dst, \src0, \src1 
.endm

.macro _v_cmpx_gt_i64 dst, src0, src1=
   v_cmpx_gt_i64 \dst, \src0, \src1 
.endm

.macro _v_cmpx_gt_u16 dst, src0, src1=
   v_cmpx_gt_u16 \dst, \src0, \src1 
.endm

.macro _v_cmpx_gt_u32 dst, src0, src1=
   v_cmpx_gt_u32 \dst, \src0, \src1 
.endm

.macro _v_cmpx_gt_u64 dst, src0, src1=
   v_cmpx_gt_u64 \dst, \src0, \src1 
.endm

.macro _v_cmpx_ne_i16 dst, src0, src1=
   v_cmpx_ne_i16 \dst, \src0, \src1 
.endm

.macro _v_cmpx_ne_i32 dst, src0, src1=
   v_cmpx_ne_i32 \dst, \src0, \src1 
.endm

.macro _v_cmpx_ne_i64 dst, src0, src1=
   v_cmpx_ne_i64 \dst, \src0, \src1 
.endm

.macro _v_cmpx_ne_u16 dst, src0, src1=
   v_cmpx_ne_u16 \dst, \src0, \src1 
.endm

.macro _v_cmpx_ne_u32 dst, src0, src1=
   v_cmpx_ne_u32 \dst, \src0, \src1 
.endm

.macro _v_cmpx_ne_u64 dst, src0, src1=
   v_cmpx_ne_u64 \dst, \src0, \src1 
.endm

.macro _v_cmpx_lg_i16 dst, src0, src1=
   v_cmpx_lg_i16 \dst, \src0, \src1 
.endm

.macro _v_cmpx_lg_i32 dst, src0, src1=
   v_cmpx_lg_i32 \dst, \src0, \src1 
.endm

.macro _v_cmpx_lg_i64 dst, src0, src1=
   v_cmpx_lg_i64 \dst, \src0, \src1 
.endm

.macro _v_cmpx_lg_u16 dst, src0, src1=
   v_cmpx_lg_u16 \dst, \src0, \src1 
.endm

.macro _v_cmpx_lg_u32 dst, src0, src1=
   v_cmpx_lg_u32 \dst, \src0, \src1 
.endm

.macro _v_cmpx_lg_u64 dst, src0, src1=
   v_cmpx_lg_u64 \dst, \src0, \src1 
.endm

.macro _v_cmpx_ge_i16 dst, src0, src1=
   v_cmpx_ge_i16 \dst, \src0, \src1 
.endm

.macro _v_cmpx_ge_i32 dst, src0, src1=
   v_cmpx_ge_i32 \dst, \src0, \src1 
.endm

.macro _v_cmpx_ge_i64 dst, src0, src1=
   v_cmpx_ge_i64 \dst, \src0, \src1 
.endm

.macro _v_cmpx_ge_u16 dst, src0, src1=
   v_cmpx_ge_u16 \dst, \src0, \src1 
.endm

.macro _v_cmpx_ge_u32 dst, src0, src1=
   v_cmpx_ge_u32 \dst, \src0, \src1 
.endm

.macro _v_cmpx_ge_u64 dst, src0, src1=
   v_cmpx_ge_u64 \dst, \src0, \src1 
.endm

.macro _v_cmpx_o_i16 dst, src0, src1=
   v_cmpx_o_i16 \dst, \src0, \src1 
.endm

.macro _v_cmpx_o_i32 dst, src0, src1=
   v_cmpx_o_i32 \dst, \src0, \src1 
.endm

.macro _v_cmpx_o_i64 dst, src0, src1=
   v_cmpx_o_i64 \dst, \src0, \src1 
.endm

.macro _v_cmpx_o_u16 dst, src0, src1=
   v_cmpx_o_u16 \dst, \src0, \src1 
.endm

.macro _v_cmpx_o_u32 dst, src0, src1=
   v_cmpx_o_u32 \dst, \src0, \src1 
.endm

.macro _v_cmpx_o_u64 dst, src0, src1=
   v_cmpx_o_u64 \dst, \src0, \src1 
.endm

.macro _v_cmpx_u_i16 dst, src0, src1=
   v_cmpx_u_i16 \dst, \src0, \src1 
.endm

.macro _v_cmpx_u_i32 dst, src0, src1=
   v_cmpx_u_i32 \dst, \src0, \src1 
.endm

.macro _v_cmpx_u_i64 dst, src0, src1=
   v_cmpx_u_i64 \dst, \src0, \src1 
.endm

.macro _v_cmpx_u_u16 dst, src0, src1=
   v_cmpx_u_u16 \dst, \src0, \src1 
.endm

.macro _v_cmpx_u_u32 dst, src0, src1=
   v_cmpx_u_u32 \dst, \src0, \src1 
.endm

.macro _v_cmpx_u_u64 dst, src0, src1=
   v_cmpx_u_u64 \dst, \src0, \src1 
.endm
.macro _v_mac_f32 c:req, a:req, b:req
    v_fmac_f32 \c, \a, \b
.endmacro

/* scale global load macros */
.macro _s_load_b32 dst base offset
    s_load_dword \dst \base \offset
.endm

.macro _s_load_b64 dst base offset
    s_load_dwordx2 \dst \base \offset
.endm

.macro _s_load_b128 dst base offset
    s_load_dwordx4 \dst \base \offset
.endm

.macro _s_load_b256 dst base offset
    s_load_dwordx8 \dst \base \offset
.endm

.macro _s_load_b512 dst base offset
    s_load_dwordx16 \dst \base \offset
.endm


/* ds operation macros */
.macro _ds_load_u8 dst src offset
    ds_read_u8 \dst \src \offset
.endm

.macro _ds_load_u8_d16_hi dst src offset
    ds_read_u8_d16_hi \dst \src \offset
.endm

.macro _ds_load_u16 dst src offset
    ds_read_u16 \dst \src \offset
.endm

.macro _ds_load_u16_d16_hi dst src offset
    ds_read_u16_d16_hi \dst \src \offset
.endm

.macro _ds_load_b32 dst src offset
    ds_read_b32 \dst \src \offset
.endm

.macro _ds_load_b64 dst src offset
    ds_read_b64 \dst \src \offset
.endm

.macro _ds_load_b128 dst src offset
    ds_read_b128 \dst \src \offset
.endm

.macro _ds_store_b8 dst src offset
    ds_write_b8 \dst \src \offset
.endm

.macro _ds_store_b8_d16_hi dst src offset
    ds_write_b8_d16_hi \dst \src \offset
.endm

.macro _ds_store_b16 dst src offset
    ds_write_b16 \dst \src \offset
.endm

.macro _ds_store_b16_d16_hi dst src offset
    ds_write_b16_d16_hi \dst \src \offset
.endm

.macro _ds_store_b32 dst src offset
    ds_write_b32 \dst \src \offset
.endm

.macro _ds_store_b64 dst src offset
    ds_write_b64 \dst \src \offset
.endm

.macro _ds_store_b128 dst src offset
    ds_write_b128 \dst \src \offset
.endm

.macro _ds_load2_b32 dst src offset1 offset2
    ds_read2_b32 \dst \src \offset1 \offset2
.endm

.macro _ds_load2_b64 dst src offset1 offset2
    ds_read2_b64 \dst \src \offset1 \offset2
.endm

.macro _ds_store2_b32 dst src offset1 offset2
    ds_write2_b32 \dst \src \offset1 \offset2
.endm

.macro _ds_store2_b64 dst src offset1 offset2
    ds_write2_b64 \dst \src \offset1 \offset2
.endm


/* buffer memory operation macros */
.macro _buffer_load_b32 dst voffset base soffset offen ioffset md0 md1 md2
    buffer_load_dword \dst \voffset \base \soffset \offen \ioffset \md0 \md1 \md2
.endm

.macro _buffer_load_b64 dst voffset base soffset offen ioffset md0 md1 md2
    buffer_load_dwordx2 \dst \voffset \base \soffset \offen \ioffset \md0 \md1 \md2
.endm

.macro _buffer_load_b96 dst voffset base soffset offen ioffset md0 md1 md2
    buffer_load_dwordx3 \dst \voffset \base \soffset \offen \ioffset \md0 \md1 \md2
.endm

.macro _buffer_load_b128 dst voffset base soffset offen ioffset md0 md1 md2
    buffer_load_dwordx4 \dst \voffset \base \soffset \offen \ioffset \md0 \md1 \md2
.endm

.macro _buffer_load_d16_b16 dst voffset base soffset offen ioffset md0 md1 md2
    buffer_load_short_d16 \dst \voffset \base \soffset \offen \ioffset \md0 \md1 \md2
.endm

.macro _buffer_load_d16_hi_b16 dst voffset base soffset offen ioffset md0 md1 md2
    buffer_load_short_d16_hi \dst \voffset \base \soffset \offen \ioffset \md0 \md1 \md2
.endm

.macro _buffer_load_d16_u8 dst voffset base soffset offen ioffset md0 md1 md2
    buffer_load_ubyte_d16 \dst \voffset \base \soffset \offen \ioffset \md0 \md1 \md2
.endm

.macro _buffer_load_d16_hi_u8 dst voffset base soffset offen ioffset md0 md1 md2
    buffer_load_ubyte_d16_hi \dst \voffset \base \soffset \offen \ioffset \md0 \md1 \md2
.endm

.macro _buffer_load_u16 dst voffset base soffset offen ioffset md0 md1 md2
    buffer_load_ushort \dst \voffset \base \soffset \offen \ioffset \md0 \md1 \md2
.endm

.macro _buffer_load_b32_dtl voffset base soffset offen ioffset md0 md1 md2
    buffer_load_dword \voffset \base \soffset \offen \ioffset \md0 \md1 \md2
.endm

.macro _buffer_load_b64_dtl voffset base soffset offen ioffset md0 md1 md2
    buffer_load_dwordx2 \voffset \base \soffset \offen \ioffset \md0 \md1 \md2
.endm

.macro _buffer_load_b128_dtl voffset base soffset offen ioffset md0 md1 md2
    buffer_load_dwordx4 \voffset \base \soffset \offen \ioffset \md0 \md1 \md2
.endm

.macro _buffer_load_u16_dtl voffset base soffset offen ioffset md0 md1 md2
    buffer_load_ushort \voffset \base \soffset \offen \ioffset \md0 \md1 \md2
.endm

.macro _buffer_store_b32 src voffset base soffset offen ioffset md0 md1 md2
    buffer_store_dword \src \voffset \base \soffset \offen \ioffset \md0 \md1 \md2
.endm

.macro _buffer_store_b64 src voffset base soffset offen ioffset md0 md1 md2
    buffer_store_dwordx2 \src \voffset \base \soffset \offen \ioffset \md0 \md1 \md2
.endm

.macro _buffer_store_b96 src voffset base soffset offen ioffset md0 md1 md2
    buffer_store_dwordx3 \src \voffset \base \soffset \offen \ioffset \md0 \md1 \md2
.endm

.macro _buffer_store_b128 src voffset base soffset offen ioffset md0 md1 md2
    buffer_store_dwordx4 \src \voffset \base \soffset \offen \ioffset \md0 \md1 \md2
.endm

.macro _buffer_store_b16 src voffset base soffset offen ioffset md0 md1 md2
    buffer_store_short \src \voffset \base \soffset \offen \ioffset \md0 \md1 \md2
.endm

.macro _buffer_store_d16_hi_b16 src voffset base soffset offen ioffset md0 md1 md2
    buffer_store_short_d16_hi \src \voffset \base \soffset \offen \ioffset \md0 \md1 \md2
.endm

.macro _buffer_store_b8 src voffset base soffset offen ioffset md0 md1 md2
    buffer_store_byte \src \voffset \base \soffset \offen \ioffset \md0 \md1 \md2
.endm

.macro _buffer_store_d16_hi_b8 src voffset base soffset offen ioffset md0 md1 md2
    buffer_store_byte_d16_hi \src \voffset \base \soffset \offen \ioffset \md0 \md1 \md2
.endm

.macro _buffer_atomic_cmpswap_b32 dst voffset base soffset offen ioffset md0 md1 md2
    buffer_atomic_cmpswap \dst \voffset \base \soffset \offen \ioffset \md0 \md1 \md2
.endm

.macro _buffer_atomic_cmpswap_b64 dst voffset base soffset offen ioffset md0 md1 md2
    buffer_atomic_cmpswap_x2 \dst \voffset \base \soffset \offen \ioffset \md0 \md1 \md2
.endm


/* buffer memory operation macros */
.macro _global_load_b32 dst base src ioffset md0 md1 md2
    global_load_dword \dst \base \src \ioffset \md0 \md1 \md2
.endm

.macro _global_load_b64 dst base src ioffset md0 md1 md2
    global_load_dwordx2 \dst \base \src \ioffset \md0 \md1 \md2
.endm

.macro _global_load_b96 dst base src ioffset md0 md1 md2
    global_load_dwordx3 \dst \base \src \ioffset \md0 \md1 \md2
.endm

.macro _global_load_b128 dst base src ioffset md0 md1 md2
    global_load_dwordx4 \dst \base \src \ioffset \md0 \md1 \md2
.endm

.macro _global_load_d16_b16 dst base src ioffset md0 md1 md2
    global_load_short_d16 \dst \base \src \ioffset \md0 \md1 \md2
.endm

.macro _global_load_d16_hi_b16 dst base src ioffset md0 md1 md2
    global_load_short_d16_hi \dst \base \src \ioffset \md0 \md1 \md2
.endm

.macro _global_load_d16_u8 dst base src ioffset md0 md1 md2
    global_load_ubyte_d16 \dst \base \src \ioffset \md0 \md1 \md2
.endm

.macro _global_load_d16_hi_u8 dst base src ioffset md0 md1 md2
    global_load_ubyte_d16_hi \dst \base \src \ioffset \md0 \md1 \md2
.endm

.macro _global_load_u16 dst base src ioffset md0 md1 md2
    global_load_ushort \dst \base \src \ioffset \md0 \md1 \md2
.endm

.macro _global_store_b32 base src src2 md0 md1 md2
    global_store_dword \base \src \src2 \md0 \md1 \md2
.endm

.macro _global_store_b64 base src src2 md0 md1 md2
    global_store_dwordx2 \base \src \src2 \md0 \md1 \md2
.endm

.macro _global_store_b96 base src src2 md0 md1 md2
    global_store_dwordx3 \base \src \src2 \md0 \md1 \md2
.endm

.macro _global_store_b128 base src src2 md0 md1 md2
    global_store_dwordx4 \base \src \src2 \md0 \md1 \md2
.endm

.macro _global_store_d16_b16 base src src2 md0 md1 md2
    global_store_short \base \src \src2 \md0 \md1 \md2
.endm

.macro _global_store_d16_hi_b16 base src src2 md0 md1 md2
    global_store_short_d16_hi \base \src \src2 \md0 \md1 \md2
.endm

.macro _global_store_d16_u8 base src src2 md0 md1 md2
    global_store_ubyte_d16 \base \src \src2 \md0 \md1 \md2
.endm

.macro _global_store_d16_hi_u8 base src src2 md0 md1 md2
    global_store_ubyte_d16_hi \base \src \src2 \md0 \md1 \md2
.endm

.macro _global_store_u16 base src src2 md0 md1 md2
    global_store_ushort \base \src \src2 \md0 \md1 \md2
.endm

.macro _global_atomic_cmpswap_b32 tmp base data src ioffset md
    global_atomic_cmpswap \tmp \base \data \src \ioffset \md
.endm

.macro _global_atomic_cmpswap_b64 tmp base data src ioffset md
    global_atomic_cmpswap_x2 \tmp \base \data \src \ioffset \md
.endm


/******************************************/
/* Magic div and mod functions            */
/******************************************/
.macro V_MAGIC_DIV dstIdx:req, dividend:req, magicNumber:req, magicShift:req, magicA:req
    v_mul_hi_u32 v[\dstIdx+1], \dividend, \magicNumber
    v_mul_lo_u32 v[\dstIdx+0], \dividend, \magicA
    _v_add_u32 v[\dstIdx+0], v[\dstIdx+0], v[\dstIdx+1]
    v_lshrrev_b32 v[\dstIdx+0], \magicShift, v[\dstIdx+0]
.endm

/******************************************/
/* VGPR Assignments                       */
/******************************************/
/* ValuC range: [0-0), serializedStore enabled */
.set vgprValuC, 0
/* ValuA/B   Xn=PLR buffer idx,  In=InnerUnroll idx */
.set vgprValuA_X0_I0, 0
.set vgprValuA_X1_I0, 4
.set vgprValuA_X2_I0, 8
.set vgprValuA_X3_I0, 12
.set vgprG2LA, 84
.set vgprValuB_X0_I0, 16
.set vgprValuB_X1_I0, 32
.set vgprValuB_X2_I0, 48
.set vgprValuB_X3_I0, 64
.set vgprG2LB, 100
.set vgprLocalWriteAddrA, 80
.set vgprLocalWriteAddrB, 81
.set vgprGlobalReadOffsetA, 82
.set vgprGlobalReadOffsetB, 83
.set vgprLocalReadAddrA, 116
.set vgprLocalReadAddrB, 117
.set vgprSerial, 118
/* Num VGPR=256 */
/* Num AccVGPR=256 */

/******************************************/
/* SGPR Assignments                       */
/******************************************/
.set sgprKernArgAddress, 0 // (2)
.set sgprWorkGroup0, 2 // (1)
.set sgprWorkGroup1, 3 // (1)
.set sgprWorkGroup2, 4 // (1)
.set sgprLoopCounterL, 5 // (1)
.set sgprOrigLoopCounter, 6 // (1)
.set sgprSrdA, 8 // (4)
.set sgprSrdB, 12 // (4)
.set sgprSrdD, 16 // (4)
.set sgprSrdC, 20 // (4)
.set sgprTensor2dSizeA, 24 // (2)
.set sgprTensor2dSizeB, 26 // (2)
.set sgprAddressD, 28 // (2)
.set sgprAddressC, 30 // (2)
.set sgprAddressA, 32 // (2)
.set sgprAddressB, 34 // (2)
.set sgprAlpha, 36 // (1)
.set sgprBeta, 37 // (1)
.set sgprStridesD, 38 // (2)
.set sgprStridesC, 40 // (2)
.set sgprStridesA, 42 // (2)
.set sgprStridesB, 44 // (2)
.set sgprSizesFree, 46 // (3)
.set sgprSizesSum, 49 // (1)
.set sgprOrigStaggerUIter, 50 // (1)
.set sgprNumWorkGroups0, 51 // (1)
.set sgprNumWorkGroups1, 52 // (1)
.set sgprNumFullBlocks, 53 // (1)
.set sgprWgmRemainder1, 54 // (1)
.set sgprMagicNumberWgmRemainder1, 55 // (1)
.set sgprShadowLimitA, 0 // (2)
.set sgprShadowLimitB, 28 // (2)
.set sgprStaggerUIter, 7 // (1)
.set sgprWrapUA, 30 // (2)
.set sgprWrapUB, 32 // (2)
.set sgprGlobalReadIncsA, 34 // (1)
.set sgprGlobalReadIncsB, 35 // (1)
.set sgprScalarGlobalReadOffsetA, 58 // (3)
.set sgprScalarGlobalReadOffsetB, 61 // (3)
/* max SGPR=69 */

/* Size Assignments */
.set sgprSizeI, sgprSizesFree+0
.set sgprSizeJ, sgprSizesFree+1
.set sgprSizeK, sgprSizesFree+2
.set sgprSizeL, sgprSizesSum+0

/* Stride Assignments */
.set constStrideD0I, 1
.set sgprStrideD1J, sgprStridesD+0
.set sgprStrideDK, sgprStridesD+1
.set constStrideC0I, 1
.set sgprStrideC1J, sgprStridesC+0
.set sgprStrideCK, sgprStridesC+1
.set constStrideAL, 1
.set sgprStrideA0I, sgprStridesA+0
.set sgprStrideAK, sgprStridesA+1
.set constStrideBL, 1
.set sgprStrideB1J, sgprStridesB+0
.set sgprStrideBK, sgprStridesB+1

.set MT0, 256
.set MT1, 256
.set DepthU, 64
.set GSU, 1
.set BpeA, 1
.set BpeALog2, 0
.set BpeB, 1
.set BpeBLog2, 0
/* Number of elements to shift-left SRD */
.set SrdShiftLeftA, 16
.set SrdShiftLeftB, 16
/* 2GB limit - set offsets to -1 to exceed this and clamp */
.set BufferLimitA, 0xffffffff
.set BufferLimitB, 0xffffffff
.set BufferOOB, 0xfffff000

/******************************************/
/* Bits 127:96 of SRD.                    */
/* hex: 0x00020000                        */
/* dst_sel_x (3b): 0                      */
/* dst_sel_y (3b): 0                      */
/* dst_sel_z (3b): 0                      */
/* dst_sel_w (3b): 0                      */
/* num_format (3b): 0                     */
/* data_format (4b): 4                    */
/* user_vm_enable (1b): 0                 */
/* user_vm_mode (1b): 0                   */
/* index_stride (2b): 0                   */
/* add_tid_enable (1b): 0                 */
/* _unusedA (3b): 0                       */
/* nv (1b): 0                             */
/* _unusedB (2b): 0                       */
/* type (2b): 0                           */
/******************************************/
.set Srd127_96, 0x00020000

/* Global Offset A */
.macro GLOBAL_OFFSET_A vgprAddr:req vgprOffsetL:req vgprOffset0I:req vgprTmp:req
v_mul_lo_u32 v[\vgprTmp+0], s[sgprStrideA0I], v[\vgprOffset0I] // mul d1 lower
_v_add_co_u32 v[\vgprAddr+0], vcc, v[\vgprOffsetL], v[\vgprTmp+0] // accumulate K lower
_v_add_u32 v[\vgprAddr+0], 0x10, v[\vgprAddr+0]    // add prepad for pointer shift
                                                   // offset *= bytes/element (multiplier is 1, do nothing)
.endm

/* Global Offset B */
.macro GLOBAL_OFFSET_B vgprAddr:req vgprOffsetL:req vgprOffset1J:req vgprTmp:req
v_mul_lo_u32 v[\vgprTmp+0], s[sgprStrideB1J], v[\vgprOffset1J] // mul d1 lower
_v_add_co_u32 v[\vgprAddr+0], vcc, v[\vgprOffsetL], v[\vgprTmp+0] // accumulate K lower
_v_add_u32 v[\vgprAddr+0], 0x10, v[\vgprAddr+0]    // add prepad for pointer shift
                                                   // offset *= bytes/element (multiplier is 1, do nothing)
.endm

/******************************************/
/* Dynamic Scalar Divide: vQuotient=vDividend/vDivisor; vRemainder=vDividend%vDivisor; */
/******************************************/
.macro DYNAMIC_VECTOR_DIVIDE vQuotient vRemainder vDividend vDivisor vTmp0 vTmp1 sTmp
v_cvt_f32_u32 v[\vQuotient], v[\vDivisor]          // 
v_rcp_f32 v[\vQuotient], v[\vQuotient]             // 
v_mul_f32 v[\vQuotient], 0x4f800000, v[\vQuotient] // 
v_cvt_u32_f32 v[\vQuotient], v[\vQuotient]         // 
v_mul_lo_u32 v[\vRemainder], v[\vDivisor], v[\vQuotient] // 
v_mul_hi_u32 v[\vTmp0], v[\vDivisor], v[\vQuotient] // 
_v_sub_co_u32 v[\vTmp1], vcc, 0x0, v[\vRemainder]  // 
v_cmp_ne_i32 s[\sTmp:\sTmp+1], 0x0, v[\vTmp0]      // 
v_cndmask_b32 v[\vRemainder], v[\vTmp1], v[\vRemainder], s[\sTmp:\sTmp+1] // 
v_mul_hi_u32 v[\vRemainder], v[\vRemainder], v[\vQuotient] // 
_v_sub_co_u32 v[\vTmp0], vcc, v[\vQuotient], v[\vRemainder] // 
_v_add_co_u32 v[\vQuotient], vcc, v[\vQuotient], v[\vRemainder] // 
v_cndmask_b32 v[\vQuotient], v[\vQuotient], v[\vTmp0], s[\sTmp:\sTmp+1] // 
v_mul_hi_u32 v[\vQuotient], v[\vQuotient], v[\vDividend] // 
v_mul_lo_u32 v[\vRemainder], v[\vQuotient], v[\vDivisor] // 
_v_sub_co_u32 v[\vTmp0], vcc, v[\vDividend], v[\vRemainder] // 
v_cmp_ge_u32 s[\sTmp:\sTmp+1], v[\vDividend], v[\vRemainder] // 
_v_add_co_u32 v[\vRemainder], vcc, 0x1, v[\vQuotient] // 
_v_add_co_u32 v[\vTmp1], vcc, -1, v[\vQuotient]    // 
v_cmp_le_u32 vcc, v[\vDivisor], v[\vTmp0]          // 
s_and_b64 vcc, s[\sTmp:\sTmp+1], vcc               // 
v_cndmask_b32 v[\vQuotient], v[\vQuotient], v[\vRemainder], vcc // 
v_cndmask_b32 v[\vQuotient], v[\vTmp1], v[\vQuotient], s[\sTmp:\sTmp+1] // 
v_cmp_ne_i32 vcc, 0x0, v[\vDivisor]                // 
v_cndmask_b32 v[\vQuotient], -1, v[\vQuotient], vcc // final result
v_mul_lo_u32 v[\vRemainder], v[\vQuotient], v[\vDivisor] // 
_v_sub_co_u32 v[\vRemainder], vcc, v[\vDividend], v[\vRemainder] // final result
.endm



/******************************************/
/* Allocate Resources                     */
/******************************************/

Cijk_Alik_Bljk_F8F8S_BH_MT256x256x64_MI32x32x16x1_SN_1LDSB1_APM1_AF0EM1_AF1EM1_AMAS3_ASE_ASGT_ASLT_ASM_ASAE01_ASCE01_ASEM1_BL1_BS1_CLR0_DTVA0_DTVB0_ETSP_EPS1_ELFLR0_EMLL0_FSSC10_FL0_GLVWA16_GLVWB16_GRCGA1_GRPM1_GRVW16_GSU1_GSUASB_GLS0_IU1_K1_LBSPPA128_LBSPPB128_LPA16_LPB16_LRVW16_LWPMn1_MIAV0_MKFGSU256_NTA0_NTB0_NTC0_NTD0_NEPBS0_NLCA1_NLCB1_ONLL1_PGR2_PLR5_PKA0_SIA3_SLW1_SS1_SU32_SUM0_SUS128_SPO0_SRVW0_SSO0_SVW2_TSGRA0_TSGRB0_TT2_256_TLDS1_UMLDSA1_UMLDSB1_USFGROn1_VAW1_VSn1_VW2_VWB4_VFLRP0_WSGRA0_WSGRB0_WG128_2_1_WGM29_preloaded: // Kernel start when preloading

/* Load Kernel Args */
_s_load_b512 s[24:39], s[sgprKernArgAddress:sgprKernArgAddress+1], 0x0 // 
_s_load_b512 s[40:55], s[sgprKernArgAddress:sgprKernArgAddress+1], 0x40 // 
s_mov_b32 m0, 0x9000                               // LDS clamp at 36864 bytes
v_mov_b32 v[vgprSerial], v0                        // thread serial id

/******************************************/
/* Local Read Addresses                   */
/******************************************/


/* local read addresses: tile assignments a/b */

/*lr0I*/
v_and_b32 v1, 63, v[vgprSerial]                    // 0. thread id in wave: wtid = tid % wavelength(64)
v_and_b32 v0, 31, v1                               // 1. N offset: nIdx = wtid % MI_N(32)
v_lshlrev_b32 v0, 0x6, v0                          // 1. N offset: nOffset = nIdx * nStride(64)
                                                   // 2. block offset: bnIdx = bnIdx % num1DBlocks(1) is 0. do nothing
v_lshlrev_b32 v0, 0x1, v0                          // 4. apply VectorWidth: bnOffset = bnOffset * vw(2)
v_lshrrev_b32 v1, 5, v1                            // 5. K offset: kIdx = wtid / (MIN(32) * MIBB(1))
v_lshlrev_b32 v1, 0x4, v1                          // 5. K offset: lrKOffset = kIdx * mStride(16)
_v_add_u32 v0, v1, v0                              // 6. offset in wave: lrOffset = bnOffset + lrKOffset
v_lshrrev_b32 v2, 6, v[vgprSerial]                 // 7. wave offset in N dimen: wtid = tid / dividedForWaveId(64)
v_and_b32 v1, 3, v2                                // 7. wave offset in M dimen: wtid0 = wtid / num1DWaves(4)
v_lshlrev_b32 v1, 0xc, v1                          // 7. wave offset in M dimen: wOffset = wtid0 * W0Stride(4096)
_v_add_u32 v0, v1, v0                              // 8. final local read offset: flrOffset = lrOffset + WOffset
/*lr1J*/
v_and_b32 v2, 63, v[vgprSerial]                    // 0. thread id in wave: wtid = tid % wavelength(64)
v_and_b32 v1, 31, v2                               // 1. N offset: nIdx = wtid % MI_N(32)
v_lshlrev_b32 v1, 0x6, v1                          // 1. N offset: nOffset = nIdx * nStride(64)
                                                   // 2. block offset: bnIdx = bnIdx % num1DBlocks(1) is 0. do nothing
v_lshlrev_b32 v1, 0x2, v1                          // 4. apply VectorWidth: bnOffset = bnOffset * vw(4)
v_lshrrev_b32 v2, 5, v2                            // 5. K offset: kIdx = wtid / (MIN(32) * MIBB(1))
v_lshlrev_b32 v2, 0x4, v2                          // 5. K offset: lrKOffset = kIdx * mStride(16)
_v_add_u32 v1, v2, v1                              // 6. offset in wave: lrOffset = bnOffset + lrKOffset


/* local read addresses: final offsets a */

v_lshlrev_b32 v[vgprLocalReadAddrA], 0x0, v0       // Final Offset: offset = (lro0)*bpe
v_lshrrev_b32 v0, 7, v[vgprLocalReadAddrA]         // Final Offset: padding 16 per block 128
v_lshlrev_b32 v0, 0x4, v0                          // Final Offset: padding 16 per block 128
_v_add_u32 v[vgprLocalReadAddrA], v0, v[vgprLocalReadAddrA] // Final Offset: add padding 16 per block 128


/* local read addresses: final offsets b */

v_lshlrev_b32 v[vgprLocalReadAddrB], 0x0, v1       // Final Offset: offset = (lro1)*bpe
v_lshrrev_b32 v0, 7, v[vgprLocalReadAddrB]         // Final Offset: padding 16 per block 128
v_lshlrev_b32 v0, 0x4, v0                          // Final Offset: padding 16 per block 128
_v_add_u32 v[vgprLocalReadAddrB], v0, v[vgprLocalReadAddrB] // Final Offset: add padding 16 per block 128


/* local read addresses: declare addresses a */

/* N/A */


/* local read addresses: declare addresses b */

_v_add_co_u32 v[vgprLocalReadAddrB+0], vcc, 0x4800, v[vgprLocalReadAddrB+0] //  += LdsOffsetB (lower)


/* global read addresses: tile offset assignment a */

/* LVCA = 4 */
/* v0 = (local)groA-tile = serial/LVCA (note (wgA*MTA) will be added to SRD) */
/* v1 = groA-unroll = serial%LVCA */
v_lshrrev_b32 v0, 2, v[vgprSerial]                 // v0 = v[vgprSerial] / 4
v_and_b32 v1, 3, v[vgprSerial]                     // v1 = v[vgprSerial] % 4
/* gro-unroll *= glvw */
v_lshlrev_b32 v1, 0x4, v1                          // v1 = v1 * 16


/* global read addresses: tile offset assignment b */

/* LVCB = 4 */
/* v2 = (local)groB-tile = serial/LVCB (note (wgB*MTB) will be added to SRD) */
/* v3 = groB-unroll = serial%LVCB */
v_lshrrev_b32 v2, 2, v[vgprSerial]                 // v2 = v[vgprSerial] / 4
v_and_b32 v3, 3, v[vgprSerial]                     // v3 = v[vgprSerial] % 4
/* gro-unroll *= glvw */
v_lshlrev_b32 v3, 0x4, v3                          // v3 = v3 * 16


/******************************************/
/* Local Write Addresses                  */
/******************************************/

/* lwaTileAssignmentA = v0 */

/* lwaTileAssignmentB = v2 */

/* lwaUnrollAssignmentA = v1 */

/* lwaUnrollAssignmentB = v3 */


/* local write addresses: first offset a */

v_mul_u32_u24 v[vgprLocalWriteAddrA], 0x40, v0     // lwAL**(DepthU_Compute + PAD)
_v_add_lshl_u32 v[vgprLocalWriteAddrA], v1, v[vgprLocalWriteAddrA], 0x0 // lwFOA = (lwAA + lwAL*(DepthU+PAD))*bpe
v_lshrrev_b32 v4, 7, v[vgprLocalWriteAddrA]        // padding 16 per block 128
v_lshlrev_b32 v4, 0x4, v4                          // padding 16 per block 128
_v_add_u32 v[vgprLocalWriteAddrA], v4, v[vgprLocalWriteAddrA] // add padding 16 per block 128


/* local write addresses: first offset b */

v_mul_u32_u24 v[vgprLocalWriteAddrB], 0x40, v2     // lwBL**(DepthU_Compute + PAD)
_v_add_lshl_u32 v[vgprLocalWriteAddrB], v3, v[vgprLocalWriteAddrB], 0x0 // lwFOB = (lwBB + lwBL*(DepthU+PAD))*bpe
v_lshrrev_b32 v4, 7, v[vgprLocalWriteAddrB]        // padding 16 per block 128
v_lshlrev_b32 v4, 0x4, v4                          // padding 16 per block 128
_v_add_u32 v[vgprLocalWriteAddrB], v4, v[vgprLocalWriteAddrB] // add padding 16 per block 128
_v_add_co_u32 v[vgprLocalWriteAddrB], vcc, 0x4800, v[vgprLocalWriteAddrB] // lwFOB = lwB1J + lwBL*MT1J + LDS_OFFSET_B=18432*1


	;; [unrolled: 1-line block ×7, first 2 shown]
s_waitcnt lgkmcnt(0)                               // wait for 128 bytes of kern args
s_mov_b64 s[sgprSrdC+0:sgprSrdC+0+1], s[sgprAddressC+0:sgprAddressC+0+1] // copy addressC
s_mov_b64 s[sgprSrdD+0:sgprSrdD+0+1], s[sgprAddressD+0:sgprAddressD+0+1] // copy addressD
s_sub_u32 s[sgprSrdA+0], s[sgprAddressA+0], 16     // pre-pad to make room for possible pointer shift
s_subb_u32 s[sgprSrdA+1], s[sgprAddressA+1], 0     // pre-pad to make room for possible pointer shift
s_sub_u32 s[sgprSrdB+0], s[sgprAddressB+0], 16     // pre-pad to make room for possible pointer shift
s_subb_u32 s[sgprSrdB+1], s[sgprAddressB+1], 0     // pre-pad to make room for possible pointer shift

.set AddressD, UNDEF
.set AddressC, UNDEF
.set AddressA, UNDEF
.set AddressB, UNDEF

/* Short circuit condition if Alpha == 0, then sumDims=0 */
v_cmp_eq_f32 vcc, s[sgprAlpha], 0.0                // Alpha == 0.0f ?
s_cbranch_vccz label_AlphaNonZero                  // branch if alpha != 0
s_mov_b32 s[sgprSizesSum+0], 0x0                   // Set summation dim=0 if Alpha == 0
label_AlphaNonZero:


	;; [unrolled: 1-line block ×3, first 2 shown]
/******************************************/
/* Begin setupNewTile, isPap=False           */
/******************************************/


/* global read addresses: work-group */

/* graWorkGroup mapping */
s_mov_b32 s67, 0x469ee59L                          // magic number for WGM==29
s_mul_hi_u32 s65, s[sgprWorkGroup1], s67           // s_magic mul
s_mul_i32 s64, s[sgprWorkGroup1], s67              // s_magic mul
s_lshr_b64 s[64:65], s[64:65], 31                  // sMagicDiv
s_mul_i32 s65, s64, 29                             // quotient * non-magic divisor
s_sub_u32 s65, s[sgprWorkGroup1], s65              // WorkGroup1=remainder
s_mul_i32 s65, s65, s[sgprNumWorkGroups0]          // (wg1 % WGM)*nwg0
s_add_u32 s65, s65, s[sgprWorkGroup0]              // wgSerial = wg0 + (wg1 % WGM)*nwg1
s_cmp_ge_u32 s64, s[sgprNumFullBlocks]             // blockId >= numFullBlocks ?
s_cmov_b32 s67, s[sgprMagicNumberWgmRemainder1]    // 
s_cselect_b32 s66, s[sgprWgmRemainder1], 29        // 
s_mul_hi_u32 s3, s65, s67                          // s_magic mul
s_mul_i32 s2, s65, s67                             // s_magic mul
s_lshr_b64 s[2:3], s[2:3], 31                      // sMagicDiv
s_mul_i32 s[sgprWorkGroup1], s[sgprWorkGroup0], s66 // quotient * non-magic divisor
s_sub_u32 s[sgprWorkGroup1], s65, s[sgprWorkGroup1] // WorkGroup1=remainder
s_mul_i32 s64, s64, 29                             // blockId * WGM
s_add_u32 s[sgprWorkGroup1], s[sgprWorkGroup1], s64 // wg1 += blockId * WGM


/* global read addresses: unroll assignment a */

/* v1 */


/* global read addresses: unroll assignment b */

/* v3 */


/* global read addresses: other free assignments */

/* s[sgprWorkGroup2] */


/* global read addresses: tile offsets a */


	;; [unrolled: 1-line block ×3, first 2 shown]
/* global read addresses: tile offsets b */



/* global read addresses: unroll offsets a */


	;; [unrolled: 1-line block ×3, first 2 shown]
/* global read addresses: unroll offsets b */


	;; [unrolled: 1-line block ×3, first 2 shown]
/* global read addresses: final offsets a */

GLOBAL_OFFSET_A vgprGlobalReadOffsetA+0,  1,  0, 4 // gROA_0_0_0_0
s_mul_i32 s[sgprScalarGlobalReadOffsetA+0], s[sgprStrideA0I], 64 // compute offset diff (scaled tileDim)
s_lshl_b32 s[sgprScalarGlobalReadOffsetA+0], s[sgprScalarGlobalReadOffsetA+0], 0x0 // scalar offset *= bytes/element
s_mul_i32 s[sgprScalarGlobalReadOffsetA+1], s[sgprStrideA0I], 128 // compute offset diff (scaled tileDim)
s_lshl_b32 s[sgprScalarGlobalReadOffsetA+1], s[sgprScalarGlobalReadOffsetA+1], 0x0 // scalar offset *= bytes/element
	;; [unrolled: 2-line block ×3, first 2 shown]


/* global read addresses: final offsets b */

GLOBAL_OFFSET_B vgprGlobalReadOffsetB+0,  3,  2, 4 // gROB_0_0_0_0
s_mul_i32 s[sgprScalarGlobalReadOffsetB+0], s[sgprStrideB1J], 64 // compute offset diff (scaled tileDim)
s_lshl_b32 s[sgprScalarGlobalReadOffsetB+0], s[sgprScalarGlobalReadOffsetB+0], 0x0 // scalar offset *= bytes/element
s_mul_i32 s[sgprScalarGlobalReadOffsetB+1], s[sgprStrideB1J], 128 // compute offset diff (scaled tileDim)
s_lshl_b32 s[sgprScalarGlobalReadOffsetB+1], s[sgprScalarGlobalReadOffsetB+1], 0x0 // scalar offset *= bytes/element
s_mul_i32 s[sgprScalarGlobalReadOffsetB+2], s[sgprStrideB1J], 192 // compute offset diff (scaled tileDim)
s_lshl_b32 s[sgprScalarGlobalReadOffsetB+2], s[sgprScalarGlobalReadOffsetB+2], 0x0 // scalar offset *= bytes/element


/* global read addresses: addresses a */

/* max read offset = size[n] * stride[n-1] */
s_mul_hi_u32 s67, s[sgprWorkGroup0], 256           // WorkGroup[01] * MT
s_mul_i32 s66, s[sgprWorkGroup0], 256              // WorkGroup[01] * MT
s_mul_hi_u32 s67, s66, s[sgprStrideA0I]            // tlu=0, scaled tile-offset by stride
s_mul_i32 s66, s66, s[sgprStrideA0I]               // tlu=0, scaled tile-offset by stride
s_sub_u32 s[sgprShadowLimitA+0], s[sgprTensor2dSizeA], s66 // sub tileStart
s_subb_u32 s[sgprShadowLimitA+1], s[sgprTensor2dSizeA+1], s67 // sub tileStart
s_lshl_b64 s[sgprShadowLimitA:sgprShadowLimitA+1], s[sgprShadowLimitA:sgprShadowLimitA+1], 0x0 // Set limit to use bytes
s_add_u32 s[sgprShadowLimitA+0], s[sgprShadowLimitA+0], 16 // extend limit for pre-pad
s_addc_u32 s[sgprShadowLimitA+1], s[sgprShadowLimitA+1], 0 // extend limit for pre-pad
s_cmp_eq_u32 s[sgprShadowLimitA+1], 0              // are we within 2^32?
s_cselect_b32 s[sgprSrdA+2], s[sgprShadowLimitA+0], BufferLimitA // Move shadow to real if we are within 2^32
s_mul_hi_u32 s65, s[sgprStrideAK], s[sgprWorkGroup2] // Stride*WG
s_mul_i32 s64, s[sgprStrideAK], s[sgprWorkGroup2]  // Stride*WG
s_add_u32 s66, s66, s64                            // accum wg term to tilestart
s_addc_u32 s67, s67, s65                           // accum wg term to tilestart
                                                   // tileStart *= BPE (multiplier is 1, do nothing)
s_add_u32 s[sgprSrdA+0], s[sgprSrdA+0], s66        // SRD base = Address+ tileStart0
s_addc_u32 s[sgprSrdA+1], s[sgprSrdA+1], s67       // SRD base = Address+ tileStart1
s_mov_b32 s[sgprSrdA+3], Srd127_96                 // Set bits 127_96 in SRD


/* global read addresses: addresses b */

/* max read offset = size[n] * stride[n-1] */
s_mul_hi_u32 s67, s[sgprWorkGroup1], 256           // WorkGroup[01] * MT
s_mul_i32 s66, s[sgprWorkGroup1], 256              // WorkGroup[01] * MT
s_mul_hi_u32 s67, s66, s[sgprStrideB1J]            // tlu=0, scaled tile-offset by stride
s_mul_i32 s66, s66, s[sgprStrideB1J]               // tlu=0, scaled tile-offset by stride
s_sub_u32 s[sgprShadowLimitB+0], s[sgprTensor2dSizeB], s66 // sub tileStart
s_subb_u32 s[sgprShadowLimitB+1], s[sgprTensor2dSizeB+1], s67 // sub tileStart
s_lshl_b64 s[sgprShadowLimitB:sgprShadowLimitB+1], s[sgprShadowLimitB:sgprShadowLimitB+1], 0x0 // Set limit to use bytes
s_add_u32 s[sgprShadowLimitB+0], s[sgprShadowLimitB+0], 16 // extend limit for pre-pad
s_addc_u32 s[sgprShadowLimitB+1], s[sgprShadowLimitB+1], 0 // extend limit for pre-pad
s_cmp_eq_u32 s[sgprShadowLimitB+1], 0              // are we within 2^32?
s_cselect_b32 s[sgprSrdB+2], s[sgprShadowLimitB+0], BufferLimitB // Move shadow to real if we are within 2^32
s_mul_hi_u32 s65, s[sgprStrideBK], s[sgprWorkGroup2] // Stride*WG
s_mul_i32 s64, s[sgprStrideBK], s[sgprWorkGroup2]  // Stride*WG
s_add_u32 s66, s66, s64                            // accum wg term to tilestart
s_addc_u32 s67, s67, s65                           // accum wg term to tilestart
                                                   // tileStart *= BPE (multiplier is 1, do nothing)
s_add_u32 s[sgprSrdB+0], s[sgprSrdB+0], s66        // SRD base = Address+ tileStart0
s_addc_u32 s[sgprSrdB+1], s[sgprSrdB+1], s67       // SRD base = Address+ tileStart1
s_mov_b32 s[sgprSrdB+3], Srd127_96                 // Set bits 127_96 in SRD


/* global read addresses: increments a */

s_mov_b32 s[sgprGlobalReadIncsA+0], DepthU*BpeA    // incrA (unrollIdx)


/* global read addresses: increments b */

s_mov_b32 s[sgprGlobalReadIncsB+0], DepthU*BpeB    // incrB (unrollIdx)

/* declare loop num iterations */


s_lshr_b32 s[sgprLoopCounterL], s[sgprSizesSum+0], 6 // s[sgprLoopCounterL] = s[sgprSizesSum+0] / 64
s_mov_b32 s[sgprOrigLoopCounter], s[sgprLoopCounterL] // copy loop counter

s_and_b32 s[sgprStaggerUIter], s[sgprOrigStaggerUIter], s[sgprWorkGroup0] // Compute actual stagger start for this tile
s_lshl_b32 s[sgprStaggerUIter], s[sgprStaggerUIter], 1 // shift by StaggerUStride


/* SRDs += (StaggerUIter) * GlobalReadIncsA+0 */
s_mul_hi_u32 s65, s[sgprStaggerUIter], s[sgprGlobalReadIncsA+0] //  stagger byte offset
s_mul_i32 s64, s[sgprStaggerUIter], s[sgprGlobalReadIncsA+0] //  stagger byte offset
s_mul_hi_u32 s[sgprWrapUA+1], s[sgprLoopCounterL], s[sgprGlobalReadIncsA+0] // Number of bytes accessed by the unroll loop
s_mul_i32 s[sgprWrapUA+0], s[sgprLoopCounterL], s[sgprGlobalReadIncsA+0] // Number of bytes accessed by the unroll loop
s_sub_u32 s[sgprWrapUA+0], s[sgprGlobalReadIncsA+0], s[sgprWrapUA+0] // remove one iteration
s_subb_u32 s[sgprWrapUA+1], 0, s[sgprWrapUA+1]     // remove one iteration
s_add_u32 s[sgprSrdA+0], s[sgprSrdA+0], s64        // gra SRD += inc(lower)
s_addc_u32  s[sgprSrdA+1], s[sgprSrdA+1], s65      // gra SRD += inc(upper)
s_sub_u32 s[sgprShadowLimitA+0], s[sgprShadowLimitA+0], s64 // limit -= inc)
s_subb_u32 s[sgprShadowLimitA+1], s[sgprShadowLimitA+1], s65 // limit -= inc)
s_cmp_eq_u32 s[sgprShadowLimitA+1], 0              // are we within 2^32?
s_cselect_b32 s[sgprSrdA+2], s[sgprShadowLimitA+0], BufferLimitA // Move shadow to real if we are within 2^32


/* SRDs += (StaggerUIter) * GlobalReadIncsB+0 */
s_mul_hi_u32 s65, s[sgprStaggerUIter], s[sgprGlobalReadIncsB+0] //  stagger byte offset
s_mul_i32 s64, s[sgprStaggerUIter], s[sgprGlobalReadIncsB+0] //  stagger byte offset
s_mul_hi_u32 s[sgprWrapUB+1], s[sgprLoopCounterL], s[sgprGlobalReadIncsB+0] // Number of bytes accessed by the unroll loop
s_mul_i32 s[sgprWrapUB+0], s[sgprLoopCounterL], s[sgprGlobalReadIncsB+0] // Number of bytes accessed by the unroll loop
s_sub_u32 s[sgprWrapUB+0], s[sgprGlobalReadIncsB+0], s[sgprWrapUB+0] // remove one iteration
s_subb_u32 s[sgprWrapUB+1], 0, s[sgprWrapUB+1]     // remove one iteration
s_add_u32 s[sgprSrdB+0], s[sgprSrdB+0], s64        // gra SRD += inc(lower)
s_addc_u32  s[sgprSrdB+1], s[sgprSrdB+1], s65      // gra SRD += inc(upper)
s_sub_u32 s[sgprShadowLimitB+0], s[sgprShadowLimitB+0], s64 // limit -= inc)
s_subb_u32 s[sgprShadowLimitB+1], s[sgprShadowLimitB+1], s65 // limit -= inc)
s_cmp_eq_u32 s[sgprShadowLimitB+1], 0              // are we within 2^32?
s_cselect_b32 s[sgprSrdB+2], s[sgprShadowLimitB+0], BufferLimitB // Move shadow to real if we are within 2^32
s_add_u32 s[sgprStaggerUIter], s[sgprStaggerUIter], 2 // Subtract (PGR-1); StaggerUIter now contains target iteration to wrap

/* local read addresses: init pointers a */


/* localReadInitPointers */

/* local read addresses: init pointers b */


/* localReadInitPointers */


/* prefetch: global -> local */

s_cmp_eq_u32 s[sgprLoopCounterL], 0                // at last iteration?
s_cbranch_scc1 ShadowInitStart_10                  // skip to ShadowInitStart iter b/c numIter==0


_buffer_load_b128 v[vgprG2LA+0:vgprG2LA+0+3], v[vgprGlobalReadOffsetA+0], s[sgprSrdA:sgprSrdA+3], 0, offen offset:0 // G -> Reg 0_0_0_0
_buffer_load_b128 v[vgprG2LA+4:vgprG2LA+4+3], v[vgprGlobalReadOffsetA+0], s[sgprSrdA:sgprSrdA+3], s[sgprScalarGlobalReadOffsetA+0], offen offset:0 // G -> Reg 0_0_1_0
_buffer_load_b128 v[vgprG2LA+8:vgprG2LA+8+3], v[vgprGlobalReadOffsetA+0], s[sgprSrdA:sgprSrdA+3], s[sgprScalarGlobalReadOffsetA+1], offen offset:0 // G -> Reg 0_0_2_0
_buffer_load_b128 v[vgprG2LA+12:vgprG2LA+12+3], v[vgprGlobalReadOffsetA+0], s[sgprSrdA:sgprSrdA+3], s[sgprScalarGlobalReadOffsetA+2], offen offset:0 // G -> Reg 0_0_3_0


_buffer_load_b128 v[vgprG2LB+0:vgprG2LB+0+3], v[vgprGlobalReadOffsetB+0], s[sgprSrdB:sgprSrdB+3], 0, offen offset:0 // G -> Reg 0_0_0_0
_buffer_load_b128 v[vgprG2LB+4:vgprG2LB+4+3], v[vgprGlobalReadOffsetB+0], s[sgprSrdB:sgprSrdB+3], s[sgprScalarGlobalReadOffsetB+0], offen offset:0 // G -> Reg 0_0_1_0
_buffer_load_b128 v[vgprG2LB+8:vgprG2LB+8+3], v[vgprGlobalReadOffsetB+0], s[sgprSrdB:sgprSrdB+3], s[sgprScalarGlobalReadOffsetB+1], offen offset:0 // G -> Reg 0_0_2_0
_buffer_load_b128 v[vgprG2LB+12:vgprG2LB+12+3], v[vgprGlobalReadOffsetB+0], s[sgprSrdB:sgprSrdB+3], s[sgprScalarGlobalReadOffsetB+2], offen offset:0 // G -> Reg 0_0_3_0


/* global read inc A loopL */
s_add_u32 s66, s[sgprLoopCounterL], 1              // remove pf(1)
s_cmp_eq_u32 s[sgprStaggerUIter], s66              // Is this wrapIter? (pf)
s_cselect_b32 s64, s[sgprWrapUA+0], s[sgprGlobalReadIncsA+0] // incLower <- ?
s_cselect_b32 s65, s[sgprWrapUA+1], 0              // incUpper <- ?
s_add_u32 s[sgprSrdA+0], s[sgprSrdA+0], s64        // gra SRD += inc(lower)
s_addc_u32  s[sgprSrdA+1], s[sgprSrdA+1], s65      // gra SRD += inc(upper)
s_sub_u32 s[sgprShadowLimitA+0], s[sgprShadowLimitA+0], s64 // limit -= inc)
s_subb_u32 s[sgprShadowLimitA+1], s[sgprShadowLimitA+1], s65 // limit -= inc)
s_cmp_eq_u32 s[sgprShadowLimitA+1], 0              // are we within 2^32?
s_cselect_b32 s[sgprSrdA+2], s[sgprShadowLimitA+0], BufferLimitA // Move shadow to real if we are within 2^32

/* global read inc B loopL */
s_add_u32 s66, s[sgprLoopCounterL], 1              // remove pf(1)
s_cmp_eq_u32 s[sgprStaggerUIter], s66              // Is this wrapIter? (pf)
s_cselect_b32 s64, s[sgprWrapUB+0], s[sgprGlobalReadIncsB+0] // incLower <- ?
s_cselect_b32 s65, s[sgprWrapUB+1], 0              // incUpper <- ?
s_add_u32 s[sgprSrdB+0], s[sgprSrdB+0], s64        // gra SRD += inc(lower)
s_addc_u32  s[sgprSrdB+1], s[sgprSrdB+1], s65      // gra SRD += inc(upper)
s_sub_u32 s[sgprShadowLimitB+0], s[sgprShadowLimitB+0], s64 // limit -= inc)
s_subb_u32 s[sgprShadowLimitB+1], s[sgprShadowLimitB+1], s65 // limit -= inc)
s_cmp_eq_u32 s[sgprShadowLimitB+1], 0              // are we within 2^32?
s_cselect_b32 s[sgprSrdB+2], s[sgprShadowLimitB+0], BufferLimitB // Move shadow to real if we are within 2^32


/******************************************/
/* End setupNewTile, isPap=False             */
/******************************************/

ShadowInitStart_10: // 

s_mov_b32 s[sgprSrdD+2], BufferOOB                 // 
s_mov_b32 s[sgprSrdD+3], Srd127_96                 // Set bits 127_96 in post-loop SRD

s_mov_b32 s[sgprSrdC+2], BufferOOB                 // 
s_mov_b32 s[sgprSrdC+3], Srd127_96                 // Set bits 127_96 in post-loop SRD


s_mul_i32 s66, MT1, s[sgprWorkGroup1]              // <- wg1*MT1
s_mul_hi_u32 s65, s66, s[sgprStrideC1J]            // CScale s66 by Stride
s_mul_i32 s64, s66, s[sgprStrideC1J]               // CScale s66 by Stride
s_lshl_b64 s[64:65], s[64:65], 0                   // scale by bpe
s_add_u32 s[sgprSrdC+0], s[sgprSrdC+0], s64        // add lo to SRD
s_addc_u32 s[sgprSrdC+1], s[sgprSrdC+1], s65       // add hi to SRD
s_mul_hi_u32 s65, s66, s[sgprStrideD1J]            // Scale s66 by Stride
s_mul_i32 s64, s66, s[sgprStrideD1J]               // Scale s66 by Stride
s_lshl_b64 s[64:65], s[64:65], 0                   // scale by bpe
s_add_u32 s[sgprSrdD+0], s[sgprSrdD+0], s64        // add lo to SRD
s_addc_u32 s[sgprSrdD+1], s[sgprSrdD+1], s65       // add hi to SRD

s_mul_hi_u32 s65, s[sgprWorkGroup2], s[sgprStrideCK] // CScale s[sgprWorkGroup2] by Stride
s_mul_i32 s64, s[sgprWorkGroup2], s[sgprStrideCK]  // CScale s[sgprWorkGroup2] by Stride
s_lshl_b64 s[64:65], s[64:65], 0                   // scale by bpe
s_add_u32 s[sgprSrdC+0], s[sgprSrdC+0], s64        // add lo to SRD
s_addc_u32 s[sgprSrdC+1], s[sgprSrdC+1], s65       // add hi to SRD
s_mul_hi_u32 s65, s[sgprWorkGroup2], s[sgprStrideDK] // Scale s[sgprWorkGroup2] by Stride
s_mul_i32 s64, s[sgprWorkGroup2], s[sgprStrideDK]  // Scale s[sgprWorkGroup2] by Stride
s_lshl_b64 s[64:65], s[64:65], 0                   // scale by bpe
s_add_u32 s[sgprSrdD+0], s[sgprSrdD+0], s64        // add lo to SRD
s_addc_u32 s[sgprSrdD+1], s[sgprSrdD+1], s65       // add hi to SRD


	;; [unrolled: 1-line block ×3, first 2 shown]
/* initC: remove C-tile 0-0 from pool */

/* initC: remove AB-tile 0-80 from pool */
v_accvgpr_write acc0, 0x0                          // initC
v_accvgpr_write acc1, 0x0                          // initC
v_accvgpr_write acc2, 0x0                          // initC
v_accvgpr_write acc3, 0x0                          // initC
v_accvgpr_write acc4, 0x0                          // initC
v_accvgpr_write acc5, 0x0                          // initC
v_accvgpr_write acc6, 0x0                          // initC
v_accvgpr_write acc7, 0x0                          // initC
v_accvgpr_write acc8, 0x0                          // initC
v_accvgpr_write acc9, 0x0                          // initC
v_accvgpr_write acc10, 0x0                         // initC
v_accvgpr_write acc11, 0x0                         // initC
v_accvgpr_write acc12, 0x0                         // initC
v_accvgpr_write acc13, 0x0                         // initC
v_accvgpr_write acc14, 0x0                         // initC
v_accvgpr_write acc15, 0x0                         // initC
v_accvgpr_write acc16, 0x0                         // initC
v_accvgpr_write acc17, 0x0                         // initC
v_accvgpr_write acc18, 0x0                         // initC
v_accvgpr_write acc19, 0x0                         // initC
v_accvgpr_write acc20, 0x0                         // initC
v_accvgpr_write acc21, 0x0                         // initC
v_accvgpr_write acc22, 0x0                         // initC
v_accvgpr_write acc23, 0x0                         // initC
v_accvgpr_write acc24, 0x0                         // initC
v_accvgpr_write acc25, 0x0                         // initC
v_accvgpr_write acc26, 0x0                         // initC
v_accvgpr_write acc27, 0x0                         // initC
v_accvgpr_write acc28, 0x0                         // initC
v_accvgpr_write acc29, 0x0                         // initC
v_accvgpr_write acc30, 0x0                         // initC
v_accvgpr_write acc31, 0x0                         // initC
v_accvgpr_write acc32, 0x0                         // initC
v_accvgpr_write acc33, 0x0                         // initC
v_accvgpr_write acc34, 0x0                         // initC
v_accvgpr_write acc35, 0x0                         // initC
v_accvgpr_write acc36, 0x0                         // initC
v_accvgpr_write acc37, 0x0                         // initC
v_accvgpr_write acc38, 0x0                         // initC
v_accvgpr_write acc39, 0x0                         // initC
v_accvgpr_write acc40, 0x0                         // initC
v_accvgpr_write acc41, 0x0                         // initC
v_accvgpr_write acc42, 0x0                         // initC
v_accvgpr_write acc43, 0x0                         // initC
v_accvgpr_write acc44, 0x0                         // initC
v_accvgpr_write acc45, 0x0                         // initC
v_accvgpr_write acc46, 0x0                         // initC
v_accvgpr_write acc47, 0x0                         // initC
v_accvgpr_write acc48, 0x0                         // initC
v_accvgpr_write acc49, 0x0                         // initC
v_accvgpr_write acc50, 0x0                         // initC
v_accvgpr_write acc51, 0x0                         // initC
v_accvgpr_write acc52, 0x0                         // initC
v_accvgpr_write acc53, 0x0                         // initC
v_accvgpr_write acc54, 0x0                         // initC
v_accvgpr_write acc55, 0x0                         // initC
v_accvgpr_write acc56, 0x0                         // initC
v_accvgpr_write acc57, 0x0                         // initC
v_accvgpr_write acc58, 0x0                         // initC
v_accvgpr_write acc59, 0x0                         // initC
v_accvgpr_write acc60, 0x0                         // initC
v_accvgpr_write acc61, 0x0                         // initC
v_accvgpr_write acc62, 0x0                         // initC
v_accvgpr_write acc63, 0x0                         // initC
v_accvgpr_write acc64, 0x0                         // initC
v_accvgpr_write acc65, 0x0                         // initC
v_accvgpr_write acc66, 0x0                         // initC
v_accvgpr_write acc67, 0x0                         // initC
v_accvgpr_write acc68, 0x0                         // initC
v_accvgpr_write acc69, 0x0                         // initC
v_accvgpr_write acc70, 0x0                         // initC
v_accvgpr_write acc71, 0x0                         // initC
v_accvgpr_write acc72, 0x0                         // initC
v_accvgpr_write acc73, 0x0                         // initC
v_accvgpr_write acc74, 0x0                         // initC
v_accvgpr_write acc75, 0x0                         // initC
v_accvgpr_write acc76, 0x0                         // initC
v_accvgpr_write acc77, 0x0                         // initC
v_accvgpr_write acc78, 0x0                         // initC
v_accvgpr_write acc79, 0x0                         // initC
v_accvgpr_write acc80, 0x0                         // initC
v_accvgpr_write acc81, 0x0                         // initC
v_accvgpr_write acc82, 0x0                         // initC
v_accvgpr_write acc83, 0x0                         // initC
v_accvgpr_write acc84, 0x0                         // initC
v_accvgpr_write acc85, 0x0                         // initC
v_accvgpr_write acc86, 0x0                         // initC
v_accvgpr_write acc87, 0x0                         // initC
v_accvgpr_write acc88, 0x0                         // initC
v_accvgpr_write acc89, 0x0                         // initC
v_accvgpr_write acc90, 0x0                         // initC
v_accvgpr_write acc91, 0x0                         // initC
v_accvgpr_write acc92, 0x0                         // initC
v_accvgpr_write acc93, 0x0                         // initC
v_accvgpr_write acc94, 0x0                         // initC
v_accvgpr_write acc95, 0x0                         // initC
v_accvgpr_write acc96, 0x0                         // initC
v_accvgpr_write acc97, 0x0                         // initC
v_accvgpr_write acc98, 0x0                         // initC
v_accvgpr_write acc99, 0x0                         // initC
v_accvgpr_write acc100, 0x0                        // initC
v_accvgpr_write acc101, 0x0                        // initC
v_accvgpr_write acc102, 0x0                        // initC
v_accvgpr_write acc103, 0x0                        // initC
v_accvgpr_write acc104, 0x0                        // initC
v_accvgpr_write acc105, 0x0                        // initC
v_accvgpr_write acc106, 0x0                        // initC
v_accvgpr_write acc107, 0x0                        // initC
v_accvgpr_write acc108, 0x0                        // initC
v_accvgpr_write acc109, 0x0                        // initC
v_accvgpr_write acc110, 0x0                        // initC
v_accvgpr_write acc111, 0x0                        // initC
v_accvgpr_write acc112, 0x0                        // initC
v_accvgpr_write acc113, 0x0                        // initC
v_accvgpr_write acc114, 0x0                        // initC
v_accvgpr_write acc115, 0x0                        // initC
v_accvgpr_write acc116, 0x0                        // initC
v_accvgpr_write acc117, 0x0                        // initC
v_accvgpr_write acc118, 0x0                        // initC
v_accvgpr_write acc119, 0x0                        // initC
v_accvgpr_write acc120, 0x0                        // initC
v_accvgpr_write acc121, 0x0                        // initC
v_accvgpr_write acc122, 0x0                        // initC
v_accvgpr_write acc123, 0x0                        // initC
v_accvgpr_write acc124, 0x0                        // initC
v_accvgpr_write acc125, 0x0                        // initC
v_accvgpr_write acc126, 0x0                        // initC
v_accvgpr_write acc127, 0x0                        // initC
v_accvgpr_write acc128, 0x0                        // initC
v_accvgpr_write acc129, 0x0                        // initC
v_accvgpr_write acc130, 0x0                        // initC
v_accvgpr_write acc131, 0x0                        // initC
v_accvgpr_write acc132, 0x0                        // initC
v_accvgpr_write acc133, 0x0                        // initC
v_accvgpr_write acc134, 0x0                        // initC
v_accvgpr_write acc135, 0x0                        // initC
v_accvgpr_write acc136, 0x0                        // initC
v_accvgpr_write acc137, 0x0                        // initC
v_accvgpr_write acc138, 0x0                        // initC
v_accvgpr_write acc139, 0x0                        // initC
v_accvgpr_write acc140, 0x0                        // initC
v_accvgpr_write acc141, 0x0                        // initC
v_accvgpr_write acc142, 0x0                        // initC
v_accvgpr_write acc143, 0x0                        // initC
v_accvgpr_write acc144, 0x0                        // initC
v_accvgpr_write acc145, 0x0                        // initC
v_accvgpr_write acc146, 0x0                        // initC
v_accvgpr_write acc147, 0x0                        // initC
v_accvgpr_write acc148, 0x0                        // initC
v_accvgpr_write acc149, 0x0                        // initC
v_accvgpr_write acc150, 0x0                        // initC
v_accvgpr_write acc151, 0x0                        // initC
v_accvgpr_write acc152, 0x0                        // initC
v_accvgpr_write acc153, 0x0                        // initC
v_accvgpr_write acc154, 0x0                        // initC
v_accvgpr_write acc155, 0x0                        // initC
v_accvgpr_write acc156, 0x0                        // initC
v_accvgpr_write acc157, 0x0                        // initC
v_accvgpr_write acc158, 0x0                        // initC
v_accvgpr_write acc159, 0x0                        // initC
v_accvgpr_write acc160, 0x0                        // initC
v_accvgpr_write acc161, 0x0                        // initC
v_accvgpr_write acc162, 0x0                        // initC
v_accvgpr_write acc163, 0x0                        // initC
v_accvgpr_write acc164, 0x0                        // initC
v_accvgpr_write acc165, 0x0                        // initC
v_accvgpr_write acc166, 0x0                        // initC
v_accvgpr_write acc167, 0x0                        // initC
v_accvgpr_write acc168, 0x0                        // initC
v_accvgpr_write acc169, 0x0                        // initC
v_accvgpr_write acc170, 0x0                        // initC
v_accvgpr_write acc171, 0x0                        // initC
v_accvgpr_write acc172, 0x0                        // initC
v_accvgpr_write acc173, 0x0                        // initC
v_accvgpr_write acc174, 0x0                        // initC
v_accvgpr_write acc175, 0x0                        // initC
v_accvgpr_write acc176, 0x0                        // initC
v_accvgpr_write acc177, 0x0                        // initC
v_accvgpr_write acc178, 0x0                        // initC
v_accvgpr_write acc179, 0x0                        // initC
v_accvgpr_write acc180, 0x0                        // initC
v_accvgpr_write acc181, 0x0                        // initC
v_accvgpr_write acc182, 0x0                        // initC
v_accvgpr_write acc183, 0x0                        // initC
v_accvgpr_write acc184, 0x0                        // initC
v_accvgpr_write acc185, 0x0                        // initC
v_accvgpr_write acc186, 0x0                        // initC
v_accvgpr_write acc187, 0x0                        // initC
v_accvgpr_write acc188, 0x0                        // initC
v_accvgpr_write acc189, 0x0                        // initC
v_accvgpr_write acc190, 0x0                        // initC
v_accvgpr_write acc191, 0x0                        // initC
v_accvgpr_write acc192, 0x0                        // initC
v_accvgpr_write acc193, 0x0                        // initC
v_accvgpr_write acc194, 0x0                        // initC
v_accvgpr_write acc195, 0x0                        // initC
v_accvgpr_write acc196, 0x0                        // initC
v_accvgpr_write acc197, 0x0                        // initC
v_accvgpr_write acc198, 0x0                        // initC
v_accvgpr_write acc199, 0x0                        // initC
v_accvgpr_write acc200, 0x0                        // initC
v_accvgpr_write acc201, 0x0                        // initC
v_accvgpr_write acc202, 0x0                        // initC
v_accvgpr_write acc203, 0x0                        // initC
v_accvgpr_write acc204, 0x0                        // initC
v_accvgpr_write acc205, 0x0                        // initC
v_accvgpr_write acc206, 0x0                        // initC
v_accvgpr_write acc207, 0x0                        // initC
v_accvgpr_write acc208, 0x0                        // initC
v_accvgpr_write acc209, 0x0                        // initC
v_accvgpr_write acc210, 0x0                        // initC
v_accvgpr_write acc211, 0x0                        // initC
v_accvgpr_write acc212, 0x0                        // initC
v_accvgpr_write acc213, 0x0                        // initC
v_accvgpr_write acc214, 0x0                        // initC
v_accvgpr_write acc215, 0x0                        // initC
v_accvgpr_write acc216, 0x0                        // initC
v_accvgpr_write acc217, 0x0                        // initC
v_accvgpr_write acc218, 0x0                        // initC
v_accvgpr_write acc219, 0x0                        // initC
v_accvgpr_write acc220, 0x0                        // initC
v_accvgpr_write acc221, 0x0                        // initC
v_accvgpr_write acc222, 0x0                        // initC
v_accvgpr_write acc223, 0x0                        // initC
v_accvgpr_write acc224, 0x0                        // initC
v_accvgpr_write acc225, 0x0                        // initC
v_accvgpr_write acc226, 0x0                        // initC
v_accvgpr_write acc227, 0x0                        // initC
v_accvgpr_write acc228, 0x0                        // initC
v_accvgpr_write acc229, 0x0                        // initC
v_accvgpr_write acc230, 0x0                        // initC
v_accvgpr_write acc231, 0x0                        // initC
v_accvgpr_write acc232, 0x0                        // initC
v_accvgpr_write acc233, 0x0                        // initC
v_accvgpr_write acc234, 0x0                        // initC
v_accvgpr_write acc235, 0x0                        // initC
v_accvgpr_write acc236, 0x0                        // initC
v_accvgpr_write acc237, 0x0                        // initC
v_accvgpr_write acc238, 0x0                        // initC
v_accvgpr_write acc239, 0x0                        // initC
v_accvgpr_write acc240, 0x0                        // initC
v_accvgpr_write acc241, 0x0                        // initC
v_accvgpr_write acc242, 0x0                        // initC
v_accvgpr_write acc243, 0x0                        // initC
v_accvgpr_write acc244, 0x0                        // initC
v_accvgpr_write acc245, 0x0                        // initC
v_accvgpr_write acc246, 0x0                        // initC
v_accvgpr_write acc247, 0x0                        // initC
v_accvgpr_write acc248, 0x0                        // initC
v_accvgpr_write acc249, 0x0                        // initC
v_accvgpr_write acc250, 0x0                        // initC
v_accvgpr_write acc251, 0x0                        // initC
v_accvgpr_write acc252, 0x0                        // initC
v_accvgpr_write acc253, 0x0                        // initC
v_accvgpr_write acc254, 0x0                        // initC
v_accvgpr_write acc255, 0x0                        // initC

s_cmp_eq_u32 s[sgprLoopCounterL], 0                // at last iteration?

/* after InitC, skip to end of prefetch last iter if numIter==0 */
s_cbranch_scc0 label_NoBranch_11                   // Only branch on scc1
s_getpc_B64 s[64:65]                               // addr of next instr
s_add_i32 s66, PrefetchGlobalLastIterEnd_5, 0x4    // target branch offset
s_add_u32 s64, s64, s66                            // add target branch offset
s_addc_u32 s65, s65, 0                             // add high and carry
s_setpc_b64 s[64:65]                               // branch to PrefetchGlobalLastIterEnd_5
label_NoBranch_11:

s_waitcnt vmcnt(0)                                 // lgkmcnt=-1 vmcnt=0 8wait for global read


/* local write a */
_ds_store_b128 v[vgprLocalWriteAddrA], v[vgprG2LA+0:vgprG2LA+0+3] offset:0 // lwoA_0_0_0_0 = (0*LSCA)*(MT0I+PAD) + (0*LSPA) = 0
_ds_store_b128 v[vgprLocalWriteAddrA], v[vgprG2LA+4:vgprG2LA+4+3] offset:4608 // lwoA_0_0_1_0 = (0*LSCA)*(MT0I+PAD) + (1*LSPA) = 4608
_ds_store_b128 v[vgprLocalWriteAddrA], v[vgprG2LA+8:vgprG2LA+8+3] offset:9216 // lwoA_0_0_2_0 = (0*LSCA)*(MT0I+PAD) + (2*LSPA) = 9216
_ds_store_b128 v[vgprLocalWriteAddrA], v[vgprG2LA+12:vgprG2LA+12+3] offset:13824 // lwoA_0_0_3_0 = (0*LSCA)*(MT0I+PAD) + (3*LSPA) = 13824

/* local write b */
_ds_store_b128 v[vgprLocalWriteAddrB], v[vgprG2LB+0:vgprG2LB+0+3] offset:0 // lwoB_0_0_0_0 = (0*LSCB)*(MT1J+PAD) + (0*LSPB) = 0
_ds_store_b128 v[vgprLocalWriteAddrB], v[vgprG2LB+4:vgprG2LB+4+3] offset:4608 // lwoB_0_0_1_0 = (0*LSCB)*(MT1J+PAD) + (1*LSPB) = 4608
_ds_store_b128 v[vgprLocalWriteAddrB], v[vgprG2LB+8:vgprG2LB+8+3] offset:9216 // lwoB_0_0_2_0 = (0*LSCB)*(MT1J+PAD) + (2*LSPB) = 9216
_ds_store_b128 v[vgprLocalWriteAddrB], v[vgprG2LB+12:vgprG2LB+12+3] offset:13824 // lwoB_0_0_3_0 = (0*LSCB)*(MT1J+PAD) + (3*LSPB) = 13824


/* local write swap a */


	;; [unrolled: 1-line block ×3, first 2 shown]
/* local write swap b */




s_cmp_eq_u32 s[sgprLoopCounterL] 0x1               // PGR=2 but only 1 loop
s_cbranch_scc1 label_0012                          // PGR=2 but only 1 loop


_buffer_load_b128 v[vgprG2LA+0:vgprG2LA+0+3], v[vgprGlobalReadOffsetA+0], s[sgprSrdA:sgprSrdA+3], 0, offen offset:0 // G -> Reg 0_0_0_0
_buffer_load_b128 v[vgprG2LA+4:vgprG2LA+4+3], v[vgprGlobalReadOffsetA+0], s[sgprSrdA:sgprSrdA+3], s[sgprScalarGlobalReadOffsetA+0], offen offset:0 // G -> Reg 0_0_1_0
_buffer_load_b128 v[vgprG2LA+8:vgprG2LA+8+3], v[vgprGlobalReadOffsetA+0], s[sgprSrdA:sgprSrdA+3], s[sgprScalarGlobalReadOffsetA+1], offen offset:0 // G -> Reg 0_0_2_0
_buffer_load_b128 v[vgprG2LA+12:vgprG2LA+12+3], v[vgprGlobalReadOffsetA+0], s[sgprSrdA:sgprSrdA+3], s[sgprScalarGlobalReadOffsetA+2], offen offset:0 // G -> Reg 0_0_3_0


_buffer_load_b128 v[vgprG2LB+0:vgprG2LB+0+3], v[vgprGlobalReadOffsetB+0], s[sgprSrdB:sgprSrdB+3], 0, offen offset:0 // G -> Reg 0_0_0_0
_buffer_load_b128 v[vgprG2LB+4:vgprG2LB+4+3], v[vgprGlobalReadOffsetB+0], s[sgprSrdB:sgprSrdB+3], s[sgprScalarGlobalReadOffsetB+0], offen offset:0 // G -> Reg 0_0_1_0
_buffer_load_b128 v[vgprG2LB+8:vgprG2LB+8+3], v[vgprGlobalReadOffsetB+0], s[sgprSrdB:sgprSrdB+3], s[sgprScalarGlobalReadOffsetB+1], offen offset:0 // G -> Reg 0_0_2_0
_buffer_load_b128 v[vgprG2LB+12:vgprG2LB+12+3], v[vgprGlobalReadOffsetB+0], s[sgprSrdB:sgprSrdB+3], s[sgprScalarGlobalReadOffsetB+2], offen offset:0 // G -> Reg 0_0_3_0

label_0012:                                        // 

s_waitcnt lgkmcnt(0)                               // lgkmcnt=0 vmcnt=-10prefetch wait for local write

// Skip force waitcnt0
s_barrier //


/* local read prefetch a */

_ds_load_b128 v[vgprValuA_X0_I0+0:vgprValuA_X0_I0+0+3], v[vgprLocalReadAddrA] offset:0 // L -> Reg lro=0 swapByteOffset=0 ti=256 vIdx=0 rIdx=0 oIdx=0 buffer=0 iui=0
_ds_load_b128 v[vgprValuA_X0_I0+4:vgprValuA_X0_I0+4+3], v[vgprLocalReadAddrA] offset:64 // L -> Reg lro=0 swapByteOffset=0 ti=256 vIdx=0 rIdx=0 oIdx=0 buffer=0 iui=0


/* local read prefetch b */

_ds_load_b128 v[vgprValuB_X0_I0+0:vgprValuB_X0_I0+0+3], v[vgprLocalReadAddrB] offset:0 // L -> Reg lro=0 swapByteOffset=0 ti=128 vIdx=0 rIdx=0 oIdx=0 buffer=0 iui=0
_ds_load_b128 v[vgprValuB_X0_I0+4:vgprValuB_X0_I0+4+3], v[vgprLocalReadAddrB] offset:64 // L -> Reg lro=0 swapByteOffset=0 ti=128 vIdx=0 rIdx=0 oIdx=0 buffer=0 iui=0
	;; [unrolled: 1-line block ×8, first 2 shown]


/* local read inc a */

/* N/A, lro->32 */
/* self.localReadDoCntA 1 self.localReadDoCntB 1 */


/* local read inc b */

/* N/A, lro->32 */
/* self.localReadDoCntA 1 self.localReadDoCntB 1 */


	;; [unrolled: 1-line block ×3, first 2 shown]
/******************************************/
/* Unrolled Loop(s) - Begin               */
/******************************************/

openLoopL_13:
s_cmp_eq_u32 s[sgprLoopCounterL], 0x1              // LoopCounterL < EndCounter
s_cbranch_scc1 label_0014                          // PGR=2 but only 1 loop, toPGR1
s_cmp_le_u32 s[sgprLoopCounterL], 0x2              // LoopCounterL < EndCounter
s_cbranch_scc1 LoopEndL_evenexit_4                 // do not enter LoopL
LoopBeginL_1:


/******************************************/
/* Unrolled Loop 1/2 - Begin              */
/******************************************/

label_0015: // LoopCopy1 


/* Begin Each Unroll: Check VGPR.checkin for INT8 LW */


	;; [unrolled: 1-line block ×3, first 2 shown]
/* iter 0 */

/*  grEndMfmaIndex:6, lwStartMfmaIndex:16, lwEndMfmaIndex:48  */
/*  numMfmaForLR:14, barrierMfmaIndex:49, LocalWritePerMfma:0.225 */
/*  mfmaIndex:0  */
s_waitcnt lgkmcnt(0)                               // lgkmcnt=0 vmcnt=-1wait for prior local read local write old=0, new=0 newLW=0 newLR=0
v_mfma_f32_32x32x16_fp8_fp8 a[0+0:15+0], v[vgprValuB_X0_I0+0+0+0:vgprValuB_X0_I0+0+0+0+1], v[vgprValuA_X0_I0+0+0+0:vgprValuA_X0_I0+0+0+0+1], a[0:15]
/*  mfmaIndex:1  */
_ds_load_b128 v[vgprValuA_X2_I0+0:vgprValuA_X2_I0+0+3], v[vgprLocalReadAddrA] offset:32 // L -> Reg lro=32 swapByteOffset=0 ti=256 vIdx=0 rIdx=0 oIdx=0 buffer=2 iui=0

/* global read inc A loopL */
s_cmp_eq_u32 s[sgprLoopCounterL], s[sgprStaggerUIter] // Is this the wrapIter?
s_cselect_b32 s64, s[sgprWrapUA+0], s[sgprGlobalReadIncsA+0] // incLower <- ?
s_cselect_b32 s65, s[sgprWrapUA+1], 0              // incUpper <- ?
v_mfma_f32_32x32x16_fp8_fp8 a[16+0:31+0], v[vgprValuB_X0_I0+0+0+0:vgprValuB_X0_I0+0+0+0+1], v[vgprValuA_X0_I0+4+0+0:vgprValuA_X0_I0+4+0+0+1], a[16:31]
/*  mfmaIndex:2  */
_ds_load_b128 v[vgprValuB_X2_I0+0:vgprValuB_X2_I0+0+3], v[vgprLocalReadAddrB] offset:32 // L -> Reg lro=32 swapByteOffset=0 ti=128 vIdx=0 rIdx=0 oIdx=0 buffer=2 iui=0
s_add_u32 s[sgprSrdA+0], s[sgprSrdA+0], s64        // gra SRD += inc(lower)
s_addc_u32  s[sgprSrdA+1], s[sgprSrdA+1], s65      // gra SRD += inc(upper)
s_sub_u32 s[sgprShadowLimitA+0], s[sgprShadowLimitA+0], s64 // limit -= inc)
v_mfma_f32_32x32x16_fp8_fp8 a[48+0:63+0], v[vgprValuB_X0_I0+4+0+0:vgprValuB_X0_I0+4+0+0+1], v[vgprValuA_X0_I0+4+0+0:vgprValuA_X0_I0+4+0+0+1], a[48:63]
/*  mfmaIndex:3  */
_ds_load_b128 v[vgprValuA_X2_I0+4:vgprValuA_X2_I0+4+3], v[vgprLocalReadAddrA] offset:96 // L -> Reg lro=32 swapByteOffset=0 ti=256 vIdx=0 rIdx=0 oIdx=0 buffer=2 iui=0
s_subb_u32 s[sgprShadowLimitA+1], s[sgprShadowLimitA+1], s65 // limit -= inc)
s_cmp_eq_u32 s[sgprShadowLimitA+1], 0              // are we within 2^32?
s_cselect_b32 s[sgprSrdA+2], s[sgprShadowLimitA+0], BufferLimitA // Move shadow to real if we are within 2^32
v_mfma_f32_32x32x16_fp8_fp8 a[32+0:47+0], v[vgprValuB_X0_I0+4+0+0:vgprValuB_X0_I0+4+0+0+1], v[vgprValuA_X0_I0+0+0+0:vgprValuA_X0_I0+0+0+0+1], a[32:47]
/*  mfmaIndex:4  */
_ds_load_b128 v[vgprValuB_X2_I0+4:vgprValuB_X2_I0+4+3], v[vgprLocalReadAddrB] offset:96 // L -> Reg lro=32 swapByteOffset=0 ti=128 vIdx=0 rIdx=0 oIdx=0 buffer=2 iui=0

/* global read inc B loopL */
s_cmp_eq_u32 s[sgprLoopCounterL], s[sgprStaggerUIter] // Is this the wrapIter?
s_cselect_b32 s64, s[sgprWrapUB+0], s[sgprGlobalReadIncsB+0] // incLower <- ?
s_cselect_b32 s65, s[sgprWrapUB+1], 0              // incUpper <- ?
v_mfma_f32_32x32x16_fp8_fp8 a[64+0:79+0], v[vgprValuB_X0_I0+8+0+0:vgprValuB_X0_I0+8+0+0+1], v[vgprValuA_X0_I0+0+0+0:vgprValuA_X0_I0+0+0+0+1], a[64:79]
/*  mfmaIndex:5  */
_ds_load_b128 v[vgprValuB_X2_I0+8:vgprValuB_X2_I0+8+3], v[vgprLocalReadAddrB] offset:176 // L -> Reg lro=32 swapByteOffset=0 ti=128 vIdx=0 rIdx=0 oIdx=0 buffer=2 iui=0
s_add_u32 s[sgprSrdB+0], s[sgprSrdB+0], s64        // gra SRD += inc(lower)
s_addc_u32  s[sgprSrdB+1], s[sgprSrdB+1], s65      // gra SRD += inc(upper)
s_sub_u32 s[sgprShadowLimitB+0], s[sgprShadowLimitB+0], s64 // limit -= inc)
v_mfma_f32_32x32x16_fp8_fp8 a[80+0:95+0], v[vgprValuB_X0_I0+8+0+0:vgprValuB_X0_I0+8+0+0+1], v[vgprValuA_X0_I0+4+0+0:vgprValuA_X0_I0+4+0+0+1], a[80:95]
/*  mfmaIndex:6  */
_ds_load_b128 v[vgprValuB_X2_I0+12:vgprValuB_X2_I0+12+3], v[vgprLocalReadAddrB] offset:240 // L -> Reg lro=32 swapByteOffset=0 ti=128 vIdx=0 rIdx=0 oIdx=0 buffer=2 iui=0
s_subb_u32 s[sgprShadowLimitB+1], s[sgprShadowLimitB+1], s65 // limit -= inc)
s_cmp_eq_u32 s[sgprShadowLimitB+1], 0              // are we within 2^32?
s_cselect_b32 s[sgprSrdB+2], s[sgprShadowLimitB+0], BufferLimitB // Move shadow to real if we are within 2^32
v_mfma_f32_32x32x16_fp8_fp8 a[112+0:127+0], v[vgprValuB_X0_I0+12+0+0:vgprValuB_X0_I0+12+0+0+1], v[vgprValuA_X0_I0+4+0+0:vgprValuA_X0_I0+4+0+0+1], a[112:127]
/*  mfmaIndex:7  */
_ds_load_b128 v[vgprValuB_X2_I0+16:vgprValuB_X2_I0+16+3], v[vgprLocalReadAddrB] offset:9248 // L -> Reg lro=32 swapByteOffset=0 ti=128 vIdx=1 rIdx=0 oIdx=0 buffer=2 iui=0
v_mfma_f32_32x32x16_fp8_fp8 a[96+0:111+0], v[vgprValuB_X0_I0+12+0+0:vgprValuB_X0_I0+12+0+0+1], v[vgprValuA_X0_I0+0+0+0:vgprValuA_X0_I0+0+0+0+1], a[96:111]
/*  mfmaIndex:8  */
_ds_load_b128 v[vgprValuB_X2_I0+20:vgprValuB_X2_I0+20+3], v[vgprLocalReadAddrB] offset:9312 // L -> Reg lro=32 swapByteOffset=0 ti=128 vIdx=1 rIdx=0 oIdx=0 buffer=2 iui=0
	;; [unrolled: 3-line block ×4, first 2 shown]
/* localReadsVacancy: latencyLeft 2 */
v_mfma_f32_32x32x16_fp8_fp8 a[176+0:191+0], v[vgprValuB_X0_I0+20+0+0:vgprValuB_X0_I0+20+0+0+1], v[vgprValuA_X0_I0+4+0+0:vgprValuA_X0_I0+4+0+0+1], a[176:191]
/*  mfmaIndex:11  */
/* localReadsVacancy: latencyLeft 6 */
v_mfma_f32_32x32x16_fp8_fp8 a[160+0:175+0], v[vgprValuB_X0_I0+20+0+0:vgprValuB_X0_I0+20+0+0+1], v[vgprValuA_X0_I0+0+0+0:vgprValuA_X0_I0+0+0+0+1], a[160:175]
/*  mfmaIndex:12  */
	;; [unrolled: 3-line block ×5, first 2 shown]
/* localReadsVacancy: latencyLeft 6 */
/* 1 LDS buffer: read-sync-write */
s_waitcnt lgkmcnt(0)                               // 
s_barrier                                          // 
v_mfma_f32_32x32x16_fp8_fp8 a[224+0:239+0], v[vgprValuB_X0_I0+28+0+0:vgprValuB_X0_I0+28+0+0+1], v[vgprValuA_X0_I0+0+0+0:vgprValuA_X0_I0+0+0+0+1], a[224:239]
/* numPrefetchIter=0 */
/* dataAtIterA=-1 numReadsIterA=1 skipReadsIterA=1 readsPerIterA=2 */
/* dataAtIterB=-1 numReadsIterB=1 skipReadsIterB=1 readsPerIterB=8 */


/* iter 1 */

/*  grEndMfmaIndex:6, lwStartMfmaIndex:16, lwEndMfmaIndex:48  */
/*  numMfmaForLR:14, barrierMfmaIndex:49, LocalWritePerMfma:0.225 */
/*  mfmaIndex:16  */
/* sched write - iter 1 writesPerItem=1 */
s_waitcnt vmcnt(0)                                 // lgkmcnt=-1 vmcnt=0wait for global read before writing to local
_ds_store_b128 v[vgprLocalWriteAddrA], v[vgprG2LA+0:vgprG2LA+0+3] offset:0 // lwoA_0_0_0_0 = (0*LSCA)*(MT0I+PAD) + (0*LSPA) = 0
s_waitcnt lgkmcnt(11)                              // lgkmcnt=0 vmcnt=-1wait for prior local read local write old=0, new=11 newLW=1 newLR=10
v_mfma_f32_32x32x16_fp8_fp8 a[0+0:15+0], v[vgprValuB_X0_I0+0+2+0:vgprValuB_X0_I0+0+2+0+1], v[vgprValuA_X0_I0+0+2+0:vgprValuA_X0_I0+0+2+0+1], a[0:15]
/*  mfmaIndex:17  */
_buffer_load_b128 v[vgprG2LA+0:vgprG2LA+0+3], v[vgprGlobalReadOffsetA+0], s[sgprSrdA:sgprSrdA+3], 0, offen offset:0 // G -> Reg 0_0_0_0
v_mfma_f32_32x32x16_fp8_fp8 a[16+0:31+0], v[vgprValuB_X0_I0+0+2+0:vgprValuB_X0_I0+0+2+0+1], v[vgprValuA_X0_I0+4+2+0:vgprValuA_X0_I0+4+2+0+1], a[16:31]
/*  mfmaIndex:18  */
v_mfma_f32_32x32x16_fp8_fp8 a[48+0:63+0], v[vgprValuB_X0_I0+4+2+0:vgprValuB_X0_I0+4+2+0+1], v[vgprValuA_X0_I0+4+2+0:vgprValuA_X0_I0+4+2+0+1], a[48:63]
/*  mfmaIndex:19  */
	;; [unrolled: 2-line block ×3, first 2 shown]
/* sched write - iter 1 writesPerItem=1 */
s_waitcnt vmcnt(0)                                 // lgkmcnt=-1 vmcnt=0wait for global read before writing to local
_ds_store_b128 v[vgprLocalWriteAddrA], v[vgprG2LA+4:vgprG2LA+4+3] offset:4608 // lwoA_0_0_1_0 = (0*LSCA)*(MT0I+PAD) + (1*LSPA) = 4608
v_mfma_f32_32x32x16_fp8_fp8 a[64+0:79+0], v[vgprValuB_X0_I0+8+2+0:vgprValuB_X0_I0+8+2+0+1], v[vgprValuA_X0_I0+0+2+0:vgprValuA_X0_I0+0+2+0+1], a[64:79]
/*  mfmaIndex:21  */
_buffer_load_b128 v[vgprG2LA+4:vgprG2LA+4+3], v[vgprGlobalReadOffsetA+0], s[sgprSrdA:sgprSrdA+3], s[sgprScalarGlobalReadOffsetA+0], offen offset:0 // G -> Reg 0_0_1_0
v_mfma_f32_32x32x16_fp8_fp8 a[80+0:95+0], v[vgprValuB_X0_I0+8+2+0:vgprValuB_X0_I0+8+2+0+1], v[vgprValuA_X0_I0+4+2+0:vgprValuA_X0_I0+4+2+0+1], a[80:95]
/*  mfmaIndex:22  */
v_mfma_f32_32x32x16_fp8_fp8 a[112+0:127+0], v[vgprValuB_X0_I0+12+2+0:vgprValuB_X0_I0+12+2+0+1], v[vgprValuA_X0_I0+4+2+0:vgprValuA_X0_I0+4+2+0+1], a[112:127]
/*  mfmaIndex:23  */
	;; [unrolled: 2-line block ×3, first 2 shown]
/* sched write - iter 1 writesPerItem=1 */
s_waitcnt vmcnt(0)                                 // lgkmcnt=-1 vmcnt=0wait for global read before writing to local
_ds_store_b128 v[vgprLocalWriteAddrA], v[vgprG2LA+8:vgprG2LA+8+3] offset:9216 // lwoA_0_0_2_0 = (0*LSCA)*(MT0I+PAD) + (2*LSPA) = 9216
v_mfma_f32_32x32x16_fp8_fp8 a[128+0:143+0], v[vgprValuB_X0_I0+16+2+0:vgprValuB_X0_I0+16+2+0+1], v[vgprValuA_X0_I0+0+2+0:vgprValuA_X0_I0+0+2+0+1], a[128:143]
/*  mfmaIndex:25  */
_buffer_load_b128 v[vgprG2LA+8:vgprG2LA+8+3], v[vgprGlobalReadOffsetA+0], s[sgprSrdA:sgprSrdA+3], s[sgprScalarGlobalReadOffsetA+1], offen offset:0 // G -> Reg 0_0_2_0
v_mfma_f32_32x32x16_fp8_fp8 a[144+0:159+0], v[vgprValuB_X0_I0+16+2+0:vgprValuB_X0_I0+16+2+0+1], v[vgprValuA_X0_I0+4+2+0:vgprValuA_X0_I0+4+2+0+1], a[144:159]
/*  mfmaIndex:26  */
v_mfma_f32_32x32x16_fp8_fp8 a[176+0:191+0], v[vgprValuB_X0_I0+20+2+0:vgprValuB_X0_I0+20+2+0+1], v[vgprValuA_X0_I0+4+2+0:vgprValuA_X0_I0+4+2+0+1], a[176:191]
/*  mfmaIndex:27  */
	;; [unrolled: 2-line block ×4, first 2 shown]
/* sched write - iter 1 writesPerItem=1 */
s_waitcnt vmcnt(0)                                 // lgkmcnt=-1 vmcnt=0wait for global read before writing to local
_ds_store_b128 v[vgprLocalWriteAddrA], v[vgprG2LA+12:vgprG2LA+12+3] offset:13824 // lwoA_0_0_3_0 = (0*LSCA)*(MT0I+PAD) + (3*LSPA) = 13824
v_mfma_f32_32x32x16_fp8_fp8 a[208+0:223+0], v[vgprValuB_X0_I0+24+2+0:vgprValuB_X0_I0+24+2+0+1], v[vgprValuA_X0_I0+4+2+0:vgprValuA_X0_I0+4+2+0+1], a[208:223]
/*  mfmaIndex:30  */
_buffer_load_b128 v[vgprG2LA+12:vgprG2LA+12+3], v[vgprGlobalReadOffsetA+0], s[sgprSrdA:sgprSrdA+3], s[sgprScalarGlobalReadOffsetA+2], offen offset:0 // G -> Reg 0_0_3_0
v_mfma_f32_32x32x16_fp8_fp8 a[240+0:255+0], v[vgprValuB_X0_I0+28+2+0:vgprValuB_X0_I0+28+2+0+1], v[vgprValuA_X0_I0+4+2+0:vgprValuA_X0_I0+4+2+0+1], a[240:255]
/*  mfmaIndex:31  */
v_mfma_f32_32x32x16_fp8_fp8 a[224+0:239+0], v[vgprValuB_X0_I0+28+2+0:vgprValuB_X0_I0+28+2+0+1], v[vgprValuA_X0_I0+0+2+0:vgprValuA_X0_I0+0+2+0+1], a[224:239]
/* numPrefetchIter=0 */
/* dataAtIterA=-1 numReadsIterA=1 skipReadsIterA=1 readsPerIterA=2 */
/* dataAtIterB=-1 numReadsIterB=1 skipReadsIterB=1 readsPerIterB=8 */


/* iter 2 (reset local read pointers iteration)  (swap local read pointers iteration)  */

/*  grEndMfmaIndex:6, lwStartMfmaIndex:16, lwEndMfmaIndex:48  */
/*  numMfmaForLR:14, barrierMfmaIndex:49, LocalWritePerMfma:0.225 */
/*  mfmaIndex:32  */
v_mfma_f32_32x32x16_fp8_fp8 a[0+0:15+0], v[vgprValuB_X2_I0+0+0+0:vgprValuB_X2_I0+0+0+0+1], v[vgprValuA_X2_I0+0+0+0:vgprValuA_X2_I0+0+0+0+1], a[0:15]
/*  mfmaIndex:33  */
/* sched write - iter 2 writesPerItem=1 */
s_waitcnt vmcnt(0)                                 // lgkmcnt=-1 vmcnt=0wait for global read before writing to local
_ds_store_b128 v[vgprLocalWriteAddrB], v[vgprG2LB+0:vgprG2LB+0+3] offset:0 // lwoB_0_0_0_0 = (0*LSCB)*(MT1J+PAD) + (0*LSPB) = 0
v_mfma_f32_32x32x16_fp8_fp8 a[16+0:31+0], v[vgprValuB_X2_I0+0+0+0:vgprValuB_X2_I0+0+0+0+1], v[vgprValuA_X2_I0+4+0+0:vgprValuA_X2_I0+4+0+0+1], a[16:31]
/*  mfmaIndex:34  */
_buffer_load_b128 v[vgprG2LB+0:vgprG2LB+0+3], v[vgprGlobalReadOffsetB+0], s[sgprSrdB:sgprSrdB+3], 0, offen offset:0 // G -> Reg 0_0_0_0
v_mfma_f32_32x32x16_fp8_fp8 a[48+0:63+0], v[vgprValuB_X2_I0+4+0+0:vgprValuB_X2_I0+4+0+0+1], v[vgprValuA_X2_I0+4+0+0:vgprValuA_X2_I0+4+0+0+1], a[48:63]
/*  mfmaIndex:35  */
v_mfma_f32_32x32x16_fp8_fp8 a[32+0:47+0], v[vgprValuB_X2_I0+4+0+0:vgprValuB_X2_I0+4+0+0+1], v[vgprValuA_X2_I0+0+0+0:vgprValuA_X2_I0+0+0+0+1], a[32:47]
/*  mfmaIndex:36  */
	;; [unrolled: 2-line block ×4, first 2 shown]
/* sched write - iter 2 writesPerItem=1 */
s_waitcnt vmcnt(0)                                 // lgkmcnt=-1 vmcnt=0wait for global read before writing to local
_ds_store_b128 v[vgprLocalWriteAddrB], v[vgprG2LB+4:vgprG2LB+4+3] offset:4608 // lwoB_0_0_1_0 = (0*LSCB)*(MT1J+PAD) + (1*LSPB) = 4608
v_mfma_f32_32x32x16_fp8_fp8 a[112+0:127+0], v[vgprValuB_X2_I0+12+0+0:vgprValuB_X2_I0+12+0+0+1], v[vgprValuA_X2_I0+4+0+0:vgprValuA_X2_I0+4+0+0+1], a[112:127]
/*  mfmaIndex:39  */
_buffer_load_b128 v[vgprG2LB+4:vgprG2LB+4+3], v[vgprGlobalReadOffsetB+0], s[sgprSrdB:sgprSrdB+3], s[sgprScalarGlobalReadOffsetB+0], offen offset:0 // G -> Reg 0_0_1_0
v_mfma_f32_32x32x16_fp8_fp8 a[96+0:111+0], v[vgprValuB_X2_I0+12+0+0:vgprValuB_X2_I0+12+0+0+1], v[vgprValuA_X2_I0+0+0+0:vgprValuA_X2_I0+0+0+0+1], a[96:111]
/*  mfmaIndex:40  */
v_mfma_f32_32x32x16_fp8_fp8 a[128+0:143+0], v[vgprValuB_X2_I0+16+0+0:vgprValuB_X2_I0+16+0+0+1], v[vgprValuA_X2_I0+0+0+0:vgprValuA_X2_I0+0+0+0+1], a[128:143]
/*  mfmaIndex:41  */
v_mfma_f32_32x32x16_fp8_fp8 a[144+0:159+0], v[vgprValuB_X2_I0+16+0+0:vgprValuB_X2_I0+16+0+0+1], v[vgprValuA_X2_I0+4+0+0:vgprValuA_X2_I0+4+0+0+1], a[144:159]
/*  mfmaIndex:42  */
/* sched write - iter 2 writesPerItem=1 */
s_waitcnt vmcnt(0)                                 // lgkmcnt=-1 vmcnt=0wait for global read before writing to local
_ds_store_b128 v[vgprLocalWriteAddrB], v[vgprG2LB+8:vgprG2LB+8+3] offset:9216 // lwoB_0_0_2_0 = (0*LSCB)*(MT1J+PAD) + (2*LSPB) = 9216
v_mfma_f32_32x32x16_fp8_fp8 a[176+0:191+0], v[vgprValuB_X2_I0+20+0+0:vgprValuB_X2_I0+20+0+0+1], v[vgprValuA_X2_I0+4+0+0:vgprValuA_X2_I0+4+0+0+1], a[176:191]
/*  mfmaIndex:43  */
_buffer_load_b128 v[vgprG2LB+8:vgprG2LB+8+3], v[vgprGlobalReadOffsetB+0], s[sgprSrdB:sgprSrdB+3], s[sgprScalarGlobalReadOffsetB+1], offen offset:0 // G -> Reg 0_0_2_0
v_mfma_f32_32x32x16_fp8_fp8 a[160+0:175+0], v[vgprValuB_X2_I0+20+0+0:vgprValuB_X2_I0+20+0+0+1], v[vgprValuA_X2_I0+0+0+0:vgprValuA_X2_I0+0+0+0+1], a[160:175]
/*  mfmaIndex:44  */
v_mfma_f32_32x32x16_fp8_fp8 a[192+0:207+0], v[vgprValuB_X2_I0+24+0+0:vgprValuB_X2_I0+24+0+0+1], v[vgprValuA_X2_I0+0+0+0:vgprValuA_X2_I0+0+0+0+1], a[192:207]
/*  mfmaIndex:45  */
	;; [unrolled: 2-line block ×4, first 2 shown]
/* sched write - iter 2 writesPerItem=1 */
s_waitcnt vmcnt(0)                                 // lgkmcnt=-1 vmcnt=0wait for global read before writing to local
_ds_store_b128 v[vgprLocalWriteAddrB], v[vgprG2LB+12:vgprG2LB+12+3] offset:13824 // lwoB_0_0_3_0 = (0*LSCB)*(MT1J+PAD) + (3*LSPB) = 13824

/* local read swap offsets a */

/* local read swap offsets b */

/* local read init pointers a */

/* localReadInitPointers */

/* local read init pointers b */

/* localReadInitPointers */
v_mfma_f32_32x32x16_fp8_fp8 a[224+0:239+0], v[vgprValuB_X2_I0+28+0+0:vgprValuB_X2_I0+28+0+0+1], v[vgprValuA_X2_I0+0+0+0:vgprValuA_X2_I0+0+0+0+1], a[224:239]


/* iter 3 (swap and reset local write pointers iteration)  */

/*  grEndMfmaIndex:6, lwStartMfmaIndex:16, lwEndMfmaIndex:48  */
/*  numMfmaForLR:14, barrierMfmaIndex:49, LocalWritePerMfma:0.225 */
/*  mfmaIndex:48  */
_buffer_load_b128 v[vgprG2LB+12:vgprG2LB+12+3], v[vgprGlobalReadOffsetB+0], s[sgprSrdB:sgprSrdB+3], s[sgprScalarGlobalReadOffsetB+2], offen offset:0 // G -> Reg 0_0_3_0

/* local write swap offsets a */

/* local write swap offsets b */
v_mfma_f32_32x32x16_fp8_fp8 a[0+0:15+0], v[vgprValuB_X2_I0+0+2+0:vgprValuB_X2_I0+0+2+0+1], v[vgprValuA_X2_I0+0+2+0:vgprValuA_X2_I0+0+2+0+1], a[0:15]
/*  mfmaIndex:49  */
s_waitcnt lgkmcnt(0)                               // lgkmcnt=0 vmcnt=-13wait for local write
// Skip force waitcnt0
s_barrier //
v_mfma_f32_32x32x16_fp8_fp8 a[16+0:31+0], v[vgprValuB_X2_I0+0+2+0:vgprValuB_X2_I0+0+2+0+1], v[vgprValuA_X2_I0+4+2+0:vgprValuA_X2_I0+4+2+0+1], a[16:31]
/*  mfmaIndex:50  */
_ds_load_b128 v[vgprValuA_X0_I0+0:vgprValuA_X0_I0+0+3], v[vgprLocalReadAddrA] offset:0 // L -> Reg lro=0 swapByteOffset=0 ti=256 vIdx=0 rIdx=0 oIdx=0 buffer=0 iui=0
v_mfma_f32_32x32x16_fp8_fp8 a[48+0:63+0], v[vgprValuB_X2_I0+4+2+0:vgprValuB_X2_I0+4+2+0+1], v[vgprValuA_X2_I0+4+2+0:vgprValuA_X2_I0+4+2+0+1], a[48:63]
/*  mfmaIndex:51  */
_ds_load_b128 v[vgprValuB_X0_I0+0:vgprValuB_X0_I0+0+3], v[vgprLocalReadAddrB] offset:0 // L -> Reg lro=0 swapByteOffset=0 ti=128 vIdx=0 rIdx=0 oIdx=0 buffer=0 iui=0
v_mfma_f32_32x32x16_fp8_fp8 a[32+0:47+0], v[vgprValuB_X2_I0+4+2+0:vgprValuB_X2_I0+4+2+0+1], v[vgprValuA_X2_I0+0+2+0:vgprValuA_X2_I0+0+2+0+1], a[32:47]
/*  mfmaIndex:52  */
_ds_load_b128 v[vgprValuA_X0_I0+4:vgprValuA_X0_I0+4+3], v[vgprLocalReadAddrA] offset:64 // L -> Reg lro=0 swapByteOffset=0 ti=256 vIdx=0 rIdx=0 oIdx=0 buffer=0 iui=0
v_mfma_f32_32x32x16_fp8_fp8 a[64+0:79+0], v[vgprValuB_X2_I0+8+2+0:vgprValuB_X2_I0+8+2+0+1], v[vgprValuA_X2_I0+0+2+0:vgprValuA_X2_I0+0+2+0+1], a[64:79]
/*  mfmaIndex:53  */
_ds_load_b128 v[vgprValuB_X0_I0+4:vgprValuB_X0_I0+4+3], v[vgprLocalReadAddrB] offset:64 // L -> Reg lro=0 swapByteOffset=0 ti=128 vIdx=0 rIdx=0 oIdx=0 buffer=0 iui=0
v_mfma_f32_32x32x16_fp8_fp8 a[80+0:95+0], v[vgprValuB_X2_I0+8+2+0:vgprValuB_X2_I0+8+2+0+1], v[vgprValuA_X2_I0+4+2+0:vgprValuA_X2_I0+4+2+0+1], a[80:95]
/*  mfmaIndex:54  */
_ds_load_b128 v[vgprValuB_X0_I0+8:vgprValuB_X0_I0+8+3], v[vgprLocalReadAddrB] offset:144 // L -> Reg lro=0 swapByteOffset=0 ti=128 vIdx=0 rIdx=0 oIdx=0 buffer=0 iui=0
	;; [unrolled: 3-line block ×7, first 2 shown]
v_mfma_f32_32x32x16_fp8_fp8 a[160+0:175+0], v[vgprValuB_X2_I0+20+2+0:vgprValuB_X2_I0+20+2+0+1], v[vgprValuA_X2_I0+0+2+0:vgprValuA_X2_I0+0+2+0+1], a[160:175]
/*  mfmaIndex:60  */
v_mfma_f32_32x32x16_fp8_fp8 a[192+0:207+0], v[vgprValuB_X2_I0+24+2+0:vgprValuB_X2_I0+24+2+0+1], v[vgprValuA_X2_I0+0+2+0:vgprValuA_X2_I0+0+2+0+1], a[192:207]
/*  mfmaIndex:61  */
	;; [unrolled: 2-line block ×4, first 2 shown]
v_mfma_f32_32x32x16_fp8_fp8 a[224+0:239+0], v[vgprValuB_X2_I0+28+2+0:vgprValuB_X2_I0+28+2+0+1], v[vgprValuA_X2_I0+0+2+0:vgprValuA_X2_I0+0+2+0+1], a[224:239]


/******************************************/
/* Unrolled Loop - End 1/2                */
/******************************************/


/* closeLoop loopL finalLoop=0 tailLoop=0 */
s_sub_u32 s[sgprLoopCounterL], s[sgprLoopCounterL], 1 // dec counterL
s_cmp_eq_i32 s[sgprLoopCounterL], 0x2              // counterL==2
s_cbranch_scc1 LoopEndL_oddexit_3                  // exit LoopL


/******************************************/
/* Unrolled Loop 2/2 - Begin              */
/******************************************/

label_0016: // LoopCopy2 


/* Begin Each Unroll: Check VGPR.checkin for INT8 LW */



/* iter 0 */

/*  grEndMfmaIndex:6, lwStartMfmaIndex:16, lwEndMfmaIndex:48  */
/*  numMfmaForLR:14, barrierMfmaIndex:49, LocalWritePerMfma:0.225 */
/*  mfmaIndex:0  */
s_waitcnt lgkmcnt(0)                               // lgkmcnt=0 vmcnt=-1wait for prior local read local write old=0, new=0 newLW=0 newLR=0
v_mfma_f32_32x32x16_fp8_fp8 a[0+0:15+0], v[vgprValuB_X0_I0+0+0+0:vgprValuB_X0_I0+0+0+0+1], v[vgprValuA_X0_I0+0+0+0:vgprValuA_X0_I0+0+0+0+1], a[0:15]
/*  mfmaIndex:1  */
_ds_load_b128 v[vgprValuA_X2_I0+0:vgprValuA_X2_I0+0+3], v[vgprLocalReadAddrA] offset:32 // L -> Reg lro=32 swapByteOffset=0 ti=256 vIdx=0 rIdx=0 oIdx=0 buffer=2 iui=0

/* global read inc A loopL */
s_cmp_eq_u32 s[sgprLoopCounterL], s[sgprStaggerUIter] // Is this the wrapIter?
s_cselect_b32 s64, s[sgprWrapUA+0], s[sgprGlobalReadIncsA+0] // incLower <- ?
s_cselect_b32 s65, s[sgprWrapUA+1], 0              // incUpper <- ?
v_mfma_f32_32x32x16_fp8_fp8 a[16+0:31+0], v[vgprValuB_X0_I0+0+0+0:vgprValuB_X0_I0+0+0+0+1], v[vgprValuA_X0_I0+4+0+0:vgprValuA_X0_I0+4+0+0+1], a[16:31]
/*  mfmaIndex:2  */
_ds_load_b128 v[vgprValuB_X2_I0+0:vgprValuB_X2_I0+0+3], v[vgprLocalReadAddrB] offset:32 // L -> Reg lro=32 swapByteOffset=0 ti=128 vIdx=0 rIdx=0 oIdx=0 buffer=2 iui=0
s_add_u32 s[sgprSrdA+0], s[sgprSrdA+0], s64        // gra SRD += inc(lower)
s_addc_u32  s[sgprSrdA+1], s[sgprSrdA+1], s65      // gra SRD += inc(upper)
s_sub_u32 s[sgprShadowLimitA+0], s[sgprShadowLimitA+0], s64 // limit -= inc)
v_mfma_f32_32x32x16_fp8_fp8 a[48+0:63+0], v[vgprValuB_X0_I0+4+0+0:vgprValuB_X0_I0+4+0+0+1], v[vgprValuA_X0_I0+4+0+0:vgprValuA_X0_I0+4+0+0+1], a[48:63]
/*  mfmaIndex:3  */
_ds_load_b128 v[vgprValuA_X2_I0+4:vgprValuA_X2_I0+4+3], v[vgprLocalReadAddrA] offset:96 // L -> Reg lro=32 swapByteOffset=0 ti=256 vIdx=0 rIdx=0 oIdx=0 buffer=2 iui=0
s_subb_u32 s[sgprShadowLimitA+1], s[sgprShadowLimitA+1], s65 // limit -= inc)
s_cmp_eq_u32 s[sgprShadowLimitA+1], 0              // are we within 2^32?
s_cselect_b32 s[sgprSrdA+2], s[sgprShadowLimitA+0], BufferLimitA // Move shadow to real if we are within 2^32
v_mfma_f32_32x32x16_fp8_fp8 a[32+0:47+0], v[vgprValuB_X0_I0+4+0+0:vgprValuB_X0_I0+4+0+0+1], v[vgprValuA_X0_I0+0+0+0:vgprValuA_X0_I0+0+0+0+1], a[32:47]
/*  mfmaIndex:4  */
_ds_load_b128 v[vgprValuB_X2_I0+4:vgprValuB_X2_I0+4+3], v[vgprLocalReadAddrB] offset:96 // L -> Reg lro=32 swapByteOffset=0 ti=128 vIdx=0 rIdx=0 oIdx=0 buffer=2 iui=0

/* global read inc B loopL */
s_cmp_eq_u32 s[sgprLoopCounterL], s[sgprStaggerUIter] // Is this the wrapIter?
s_cselect_b32 s64, s[sgprWrapUB+0], s[sgprGlobalReadIncsB+0] // incLower <- ?
s_cselect_b32 s65, s[sgprWrapUB+1], 0              // incUpper <- ?
v_mfma_f32_32x32x16_fp8_fp8 a[64+0:79+0], v[vgprValuB_X0_I0+8+0+0:vgprValuB_X0_I0+8+0+0+1], v[vgprValuA_X0_I0+0+0+0:vgprValuA_X0_I0+0+0+0+1], a[64:79]
/*  mfmaIndex:5  */
_ds_load_b128 v[vgprValuB_X2_I0+8:vgprValuB_X2_I0+8+3], v[vgprLocalReadAddrB] offset:176 // L -> Reg lro=32 swapByteOffset=0 ti=128 vIdx=0 rIdx=0 oIdx=0 buffer=2 iui=0
s_add_u32 s[sgprSrdB+0], s[sgprSrdB+0], s64        // gra SRD += inc(lower)
s_addc_u32  s[sgprSrdB+1], s[sgprSrdB+1], s65      // gra SRD += inc(upper)
s_sub_u32 s[sgprShadowLimitB+0], s[sgprShadowLimitB+0], s64 // limit -= inc)
v_mfma_f32_32x32x16_fp8_fp8 a[80+0:95+0], v[vgprValuB_X0_I0+8+0+0:vgprValuB_X0_I0+8+0+0+1], v[vgprValuA_X0_I0+4+0+0:vgprValuA_X0_I0+4+0+0+1], a[80:95]
/*  mfmaIndex:6  */
_ds_load_b128 v[vgprValuB_X2_I0+12:vgprValuB_X2_I0+12+3], v[vgprLocalReadAddrB] offset:240 // L -> Reg lro=32 swapByteOffset=0 ti=128 vIdx=0 rIdx=0 oIdx=0 buffer=2 iui=0
s_subb_u32 s[sgprShadowLimitB+1], s[sgprShadowLimitB+1], s65 // limit -= inc)
s_cmp_eq_u32 s[sgprShadowLimitB+1], 0              // are we within 2^32?
s_cselect_b32 s[sgprSrdB+2], s[sgprShadowLimitB+0], BufferLimitB // Move shadow to real if we are within 2^32
v_mfma_f32_32x32x16_fp8_fp8 a[112+0:127+0], v[vgprValuB_X0_I0+12+0+0:vgprValuB_X0_I0+12+0+0+1], v[vgprValuA_X0_I0+4+0+0:vgprValuA_X0_I0+4+0+0+1], a[112:127]
/*  mfmaIndex:7  */
_ds_load_b128 v[vgprValuB_X2_I0+16:vgprValuB_X2_I0+16+3], v[vgprLocalReadAddrB] offset:9248 // L -> Reg lro=32 swapByteOffset=0 ti=128 vIdx=1 rIdx=0 oIdx=0 buffer=2 iui=0
v_mfma_f32_32x32x16_fp8_fp8 a[96+0:111+0], v[vgprValuB_X0_I0+12+0+0:vgprValuB_X0_I0+12+0+0+1], v[vgprValuA_X0_I0+0+0+0:vgprValuA_X0_I0+0+0+0+1], a[96:111]
/*  mfmaIndex:8  */
_ds_load_b128 v[vgprValuB_X2_I0+20:vgprValuB_X2_I0+20+3], v[vgprLocalReadAddrB] offset:9312 // L -> Reg lro=32 swapByteOffset=0 ti=128 vIdx=1 rIdx=0 oIdx=0 buffer=2 iui=0
	;; [unrolled: 3-line block ×4, first 2 shown]
/* localReadsVacancy: latencyLeft 2 */
v_mfma_f32_32x32x16_fp8_fp8 a[176+0:191+0], v[vgprValuB_X0_I0+20+0+0:vgprValuB_X0_I0+20+0+0+1], v[vgprValuA_X0_I0+4+0+0:vgprValuA_X0_I0+4+0+0+1], a[176:191]
/*  mfmaIndex:11  */
/* localReadsVacancy: latencyLeft 6 */
v_mfma_f32_32x32x16_fp8_fp8 a[160+0:175+0], v[vgprValuB_X0_I0+20+0+0:vgprValuB_X0_I0+20+0+0+1], v[vgprValuA_X0_I0+0+0+0:vgprValuA_X0_I0+0+0+0+1], a[160:175]
/*  mfmaIndex:12  */
	;; [unrolled: 3-line block ×5, first 2 shown]
/* localReadsVacancy: latencyLeft 6 */
/* 1 LDS buffer: read-sync-write */
s_waitcnt lgkmcnt(0)                               // 
s_barrier                                          // 
v_mfma_f32_32x32x16_fp8_fp8 a[224+0:239+0], v[vgprValuB_X0_I0+28+0+0:vgprValuB_X0_I0+28+0+0+1], v[vgprValuA_X0_I0+0+0+0:vgprValuA_X0_I0+0+0+0+1], a[224:239]
/* numPrefetchIter=0 */
/* dataAtIterA=-1 numReadsIterA=1 skipReadsIterA=1 readsPerIterA=2 */
/* dataAtIterB=-1 numReadsIterB=1 skipReadsIterB=1 readsPerIterB=8 */


/* iter 1 */

/*  grEndMfmaIndex:6, lwStartMfmaIndex:16, lwEndMfmaIndex:48  */
/*  numMfmaForLR:14, barrierMfmaIndex:49, LocalWritePerMfma:0.225 */
/*  mfmaIndex:16  */
/* sched write - iter 1 writesPerItem=1 */
s_waitcnt vmcnt(0)                                 // lgkmcnt=-1 vmcnt=0wait for global read before writing to local
_ds_store_b128 v[vgprLocalWriteAddrA], v[vgprG2LA+0:vgprG2LA+0+3] offset:0 // lwoA_0_0_0_0 = (0*LSCA)*(MT0I+PAD) + (0*LSPA) = 0
s_waitcnt lgkmcnt(11)                              // lgkmcnt=0 vmcnt=-1wait for prior local read local write old=0, new=11 newLW=1 newLR=10
v_mfma_f32_32x32x16_fp8_fp8 a[0+0:15+0], v[vgprValuB_X0_I0+0+2+0:vgprValuB_X0_I0+0+2+0+1], v[vgprValuA_X0_I0+0+2+0:vgprValuA_X0_I0+0+2+0+1], a[0:15]
/*  mfmaIndex:17  */
_buffer_load_b128 v[vgprG2LA+0:vgprG2LA+0+3], v[vgprGlobalReadOffsetA+0], s[sgprSrdA:sgprSrdA+3], 0, offen offset:0 // G -> Reg 0_0_0_0
v_mfma_f32_32x32x16_fp8_fp8 a[16+0:31+0], v[vgprValuB_X0_I0+0+2+0:vgprValuB_X0_I0+0+2+0+1], v[vgprValuA_X0_I0+4+2+0:vgprValuA_X0_I0+4+2+0+1], a[16:31]
/*  mfmaIndex:18  */
v_mfma_f32_32x32x16_fp8_fp8 a[48+0:63+0], v[vgprValuB_X0_I0+4+2+0:vgprValuB_X0_I0+4+2+0+1], v[vgprValuA_X0_I0+4+2+0:vgprValuA_X0_I0+4+2+0+1], a[48:63]
/*  mfmaIndex:19  */
	;; [unrolled: 2-line block ×3, first 2 shown]
/* sched write - iter 1 writesPerItem=1 */
s_waitcnt vmcnt(0)                                 // lgkmcnt=-1 vmcnt=0wait for global read before writing to local
_ds_store_b128 v[vgprLocalWriteAddrA], v[vgprG2LA+4:vgprG2LA+4+3] offset:4608 // lwoA_0_0_1_0 = (0*LSCA)*(MT0I+PAD) + (1*LSPA) = 4608
v_mfma_f32_32x32x16_fp8_fp8 a[64+0:79+0], v[vgprValuB_X0_I0+8+2+0:vgprValuB_X0_I0+8+2+0+1], v[vgprValuA_X0_I0+0+2+0:vgprValuA_X0_I0+0+2+0+1], a[64:79]
/*  mfmaIndex:21  */
_buffer_load_b128 v[vgprG2LA+4:vgprG2LA+4+3], v[vgprGlobalReadOffsetA+0], s[sgprSrdA:sgprSrdA+3], s[sgprScalarGlobalReadOffsetA+0], offen offset:0 // G -> Reg 0_0_1_0
v_mfma_f32_32x32x16_fp8_fp8 a[80+0:95+0], v[vgprValuB_X0_I0+8+2+0:vgprValuB_X0_I0+8+2+0+1], v[vgprValuA_X0_I0+4+2+0:vgprValuA_X0_I0+4+2+0+1], a[80:95]
/*  mfmaIndex:22  */
v_mfma_f32_32x32x16_fp8_fp8 a[112+0:127+0], v[vgprValuB_X0_I0+12+2+0:vgprValuB_X0_I0+12+2+0+1], v[vgprValuA_X0_I0+4+2+0:vgprValuA_X0_I0+4+2+0+1], a[112:127]
/*  mfmaIndex:23  */
	;; [unrolled: 2-line block ×3, first 2 shown]
/* sched write - iter 1 writesPerItem=1 */
s_waitcnt vmcnt(0)                                 // lgkmcnt=-1 vmcnt=0wait for global read before writing to local
_ds_store_b128 v[vgprLocalWriteAddrA], v[vgprG2LA+8:vgprG2LA+8+3] offset:9216 // lwoA_0_0_2_0 = (0*LSCA)*(MT0I+PAD) + (2*LSPA) = 9216
v_mfma_f32_32x32x16_fp8_fp8 a[128+0:143+0], v[vgprValuB_X0_I0+16+2+0:vgprValuB_X0_I0+16+2+0+1], v[vgprValuA_X0_I0+0+2+0:vgprValuA_X0_I0+0+2+0+1], a[128:143]
/*  mfmaIndex:25  */
_buffer_load_b128 v[vgprG2LA+8:vgprG2LA+8+3], v[vgprGlobalReadOffsetA+0], s[sgprSrdA:sgprSrdA+3], s[sgprScalarGlobalReadOffsetA+1], offen offset:0 // G -> Reg 0_0_2_0
v_mfma_f32_32x32x16_fp8_fp8 a[144+0:159+0], v[vgprValuB_X0_I0+16+2+0:vgprValuB_X0_I0+16+2+0+1], v[vgprValuA_X0_I0+4+2+0:vgprValuA_X0_I0+4+2+0+1], a[144:159]
/*  mfmaIndex:26  */
v_mfma_f32_32x32x16_fp8_fp8 a[176+0:191+0], v[vgprValuB_X0_I0+20+2+0:vgprValuB_X0_I0+20+2+0+1], v[vgprValuA_X0_I0+4+2+0:vgprValuA_X0_I0+4+2+0+1], a[176:191]
/*  mfmaIndex:27  */
	;; [unrolled: 2-line block ×4, first 2 shown]
/* sched write - iter 1 writesPerItem=1 */
s_waitcnt vmcnt(0)                                 // lgkmcnt=-1 vmcnt=0wait for global read before writing to local
_ds_store_b128 v[vgprLocalWriteAddrA], v[vgprG2LA+12:vgprG2LA+12+3] offset:13824 // lwoA_0_0_3_0 = (0*LSCA)*(MT0I+PAD) + (3*LSPA) = 13824
v_mfma_f32_32x32x16_fp8_fp8 a[208+0:223+0], v[vgprValuB_X0_I0+24+2+0:vgprValuB_X0_I0+24+2+0+1], v[vgprValuA_X0_I0+4+2+0:vgprValuA_X0_I0+4+2+0+1], a[208:223]
/*  mfmaIndex:30  */
_buffer_load_b128 v[vgprG2LA+12:vgprG2LA+12+3], v[vgprGlobalReadOffsetA+0], s[sgprSrdA:sgprSrdA+3], s[sgprScalarGlobalReadOffsetA+2], offen offset:0 // G -> Reg 0_0_3_0
v_mfma_f32_32x32x16_fp8_fp8 a[240+0:255+0], v[vgprValuB_X0_I0+28+2+0:vgprValuB_X0_I0+28+2+0+1], v[vgprValuA_X0_I0+4+2+0:vgprValuA_X0_I0+4+2+0+1], a[240:255]
/*  mfmaIndex:31  */
v_mfma_f32_32x32x16_fp8_fp8 a[224+0:239+0], v[vgprValuB_X0_I0+28+2+0:vgprValuB_X0_I0+28+2+0+1], v[vgprValuA_X0_I0+0+2+0:vgprValuA_X0_I0+0+2+0+1], a[224:239]
/* numPrefetchIter=0 */
/* dataAtIterA=-1 numReadsIterA=1 skipReadsIterA=1 readsPerIterA=2 */
/* dataAtIterB=-1 numReadsIterB=1 skipReadsIterB=1 readsPerIterB=8 */


/* iter 2 (reset local read pointers iteration)  (swap local read pointers iteration)  */

/*  grEndMfmaIndex:6, lwStartMfmaIndex:16, lwEndMfmaIndex:48  */
/*  numMfmaForLR:14, barrierMfmaIndex:49, LocalWritePerMfma:0.225 */
/*  mfmaIndex:32  */
v_mfma_f32_32x32x16_fp8_fp8 a[0+0:15+0], v[vgprValuB_X2_I0+0+0+0:vgprValuB_X2_I0+0+0+0+1], v[vgprValuA_X2_I0+0+0+0:vgprValuA_X2_I0+0+0+0+1], a[0:15]
/*  mfmaIndex:33  */
/* sched write - iter 2 writesPerItem=1 */
s_waitcnt vmcnt(0)                                 // lgkmcnt=-1 vmcnt=0wait for global read before writing to local
_ds_store_b128 v[vgprLocalWriteAddrB], v[vgprG2LB+0:vgprG2LB+0+3] offset:0 // lwoB_0_0_0_0 = (0*LSCB)*(MT1J+PAD) + (0*LSPB) = 0
v_mfma_f32_32x32x16_fp8_fp8 a[16+0:31+0], v[vgprValuB_X2_I0+0+0+0:vgprValuB_X2_I0+0+0+0+1], v[vgprValuA_X2_I0+4+0+0:vgprValuA_X2_I0+4+0+0+1], a[16:31]
/*  mfmaIndex:34  */
_buffer_load_b128 v[vgprG2LB+0:vgprG2LB+0+3], v[vgprGlobalReadOffsetB+0], s[sgprSrdB:sgprSrdB+3], 0, offen offset:0 // G -> Reg 0_0_0_0
v_mfma_f32_32x32x16_fp8_fp8 a[48+0:63+0], v[vgprValuB_X2_I0+4+0+0:vgprValuB_X2_I0+4+0+0+1], v[vgprValuA_X2_I0+4+0+0:vgprValuA_X2_I0+4+0+0+1], a[48:63]
/*  mfmaIndex:35  */
v_mfma_f32_32x32x16_fp8_fp8 a[32+0:47+0], v[vgprValuB_X2_I0+4+0+0:vgprValuB_X2_I0+4+0+0+1], v[vgprValuA_X2_I0+0+0+0:vgprValuA_X2_I0+0+0+0+1], a[32:47]
/*  mfmaIndex:36  */
	;; [unrolled: 2-line block ×4, first 2 shown]
/* sched write - iter 2 writesPerItem=1 */
s_waitcnt vmcnt(0)                                 // lgkmcnt=-1 vmcnt=0wait for global read before writing to local
_ds_store_b128 v[vgprLocalWriteAddrB], v[vgprG2LB+4:vgprG2LB+4+3] offset:4608 // lwoB_0_0_1_0 = (0*LSCB)*(MT1J+PAD) + (1*LSPB) = 4608
v_mfma_f32_32x32x16_fp8_fp8 a[112+0:127+0], v[vgprValuB_X2_I0+12+0+0:vgprValuB_X2_I0+12+0+0+1], v[vgprValuA_X2_I0+4+0+0:vgprValuA_X2_I0+4+0+0+1], a[112:127]
/*  mfmaIndex:39  */
_buffer_load_b128 v[vgprG2LB+4:vgprG2LB+4+3], v[vgprGlobalReadOffsetB+0], s[sgprSrdB:sgprSrdB+3], s[sgprScalarGlobalReadOffsetB+0], offen offset:0 // G -> Reg 0_0_1_0
v_mfma_f32_32x32x16_fp8_fp8 a[96+0:111+0], v[vgprValuB_X2_I0+12+0+0:vgprValuB_X2_I0+12+0+0+1], v[vgprValuA_X2_I0+0+0+0:vgprValuA_X2_I0+0+0+0+1], a[96:111]
/*  mfmaIndex:40  */
v_mfma_f32_32x32x16_fp8_fp8 a[128+0:143+0], v[vgprValuB_X2_I0+16+0+0:vgprValuB_X2_I0+16+0+0+1], v[vgprValuA_X2_I0+0+0+0:vgprValuA_X2_I0+0+0+0+1], a[128:143]
/*  mfmaIndex:41  */
	;; [unrolled: 2-line block ×3, first 2 shown]
/* sched write - iter 2 writesPerItem=1 */
s_waitcnt vmcnt(0)                                 // lgkmcnt=-1 vmcnt=0wait for global read before writing to local
_ds_store_b128 v[vgprLocalWriteAddrB], v[vgprG2LB+8:vgprG2LB+8+3] offset:9216 // lwoB_0_0_2_0 = (0*LSCB)*(MT1J+PAD) + (2*LSPB) = 9216
v_mfma_f32_32x32x16_fp8_fp8 a[176+0:191+0], v[vgprValuB_X2_I0+20+0+0:vgprValuB_X2_I0+20+0+0+1], v[vgprValuA_X2_I0+4+0+0:vgprValuA_X2_I0+4+0+0+1], a[176:191]
/*  mfmaIndex:43  */
_buffer_load_b128 v[vgprG2LB+8:vgprG2LB+8+3], v[vgprGlobalReadOffsetB+0], s[sgprSrdB:sgprSrdB+3], s[sgprScalarGlobalReadOffsetB+1], offen offset:0 // G -> Reg 0_0_2_0
v_mfma_f32_32x32x16_fp8_fp8 a[160+0:175+0], v[vgprValuB_X2_I0+20+0+0:vgprValuB_X2_I0+20+0+0+1], v[vgprValuA_X2_I0+0+0+0:vgprValuA_X2_I0+0+0+0+1], a[160:175]
/*  mfmaIndex:44  */
v_mfma_f32_32x32x16_fp8_fp8 a[192+0:207+0], v[vgprValuB_X2_I0+24+0+0:vgprValuB_X2_I0+24+0+0+1], v[vgprValuA_X2_I0+0+0+0:vgprValuA_X2_I0+0+0+0+1], a[192:207]
/*  mfmaIndex:45  */
	;; [unrolled: 2-line block ×4, first 2 shown]
/* sched write - iter 2 writesPerItem=1 */
s_waitcnt vmcnt(0)                                 // lgkmcnt=-1 vmcnt=0wait for global read before writing to local
_ds_store_b128 v[vgprLocalWriteAddrB], v[vgprG2LB+12:vgprG2LB+12+3] offset:13824 // lwoB_0_0_3_0 = (0*LSCB)*(MT1J+PAD) + (3*LSPB) = 13824

/* local read swap offsets a */

/* local read swap offsets b */

/* local read init pointers a */

/* localReadInitPointers */

/* local read init pointers b */

/* localReadInitPointers */
v_mfma_f32_32x32x16_fp8_fp8 a[224+0:239+0], v[vgprValuB_X2_I0+28+0+0:vgprValuB_X2_I0+28+0+0+1], v[vgprValuA_X2_I0+0+0+0:vgprValuA_X2_I0+0+0+0+1], a[224:239]


/* iter 3 (swap and reset local write pointers iteration)  */

/*  grEndMfmaIndex:6, lwStartMfmaIndex:16, lwEndMfmaIndex:48  */
/*  numMfmaForLR:14, barrierMfmaIndex:49, LocalWritePerMfma:0.225 */
/*  mfmaIndex:48  */
_buffer_load_b128 v[vgprG2LB+12:vgprG2LB+12+3], v[vgprGlobalReadOffsetB+0], s[sgprSrdB:sgprSrdB+3], s[sgprScalarGlobalReadOffsetB+2], offen offset:0 // G -> Reg 0_0_3_0

/* local write swap offsets a */

/* local write swap offsets b */
v_mfma_f32_32x32x16_fp8_fp8 a[0+0:15+0], v[vgprValuB_X2_I0+0+2+0:vgprValuB_X2_I0+0+2+0+1], v[vgprValuA_X2_I0+0+2+0:vgprValuA_X2_I0+0+2+0+1], a[0:15]
/*  mfmaIndex:49  */
s_waitcnt lgkmcnt(0)                               // lgkmcnt=0 vmcnt=-13wait for local write
// Skip force waitcnt0
s_barrier //
v_mfma_f32_32x32x16_fp8_fp8 a[16+0:31+0], v[vgprValuB_X2_I0+0+2+0:vgprValuB_X2_I0+0+2+0+1], v[vgprValuA_X2_I0+4+2+0:vgprValuA_X2_I0+4+2+0+1], a[16:31]
/*  mfmaIndex:50  */
_ds_load_b128 v[vgprValuA_X0_I0+0:vgprValuA_X0_I0+0+3], v[vgprLocalReadAddrA] offset:0 // L -> Reg lro=0 swapByteOffset=0 ti=256 vIdx=0 rIdx=0 oIdx=0 buffer=0 iui=0
v_mfma_f32_32x32x16_fp8_fp8 a[48+0:63+0], v[vgprValuB_X2_I0+4+2+0:vgprValuB_X2_I0+4+2+0+1], v[vgprValuA_X2_I0+4+2+0:vgprValuA_X2_I0+4+2+0+1], a[48:63]
/*  mfmaIndex:51  */
_ds_load_b128 v[vgprValuB_X0_I0+0:vgprValuB_X0_I0+0+3], v[vgprLocalReadAddrB] offset:0 // L -> Reg lro=0 swapByteOffset=0 ti=128 vIdx=0 rIdx=0 oIdx=0 buffer=0 iui=0
v_mfma_f32_32x32x16_fp8_fp8 a[32+0:47+0], v[vgprValuB_X2_I0+4+2+0:vgprValuB_X2_I0+4+2+0+1], v[vgprValuA_X2_I0+0+2+0:vgprValuA_X2_I0+0+2+0+1], a[32:47]
/*  mfmaIndex:52  */
_ds_load_b128 v[vgprValuA_X0_I0+4:vgprValuA_X0_I0+4+3], v[vgprLocalReadAddrA] offset:64 // L -> Reg lro=0 swapByteOffset=0 ti=256 vIdx=0 rIdx=0 oIdx=0 buffer=0 iui=0
v_mfma_f32_32x32x16_fp8_fp8 a[64+0:79+0], v[vgprValuB_X2_I0+8+2+0:vgprValuB_X2_I0+8+2+0+1], v[vgprValuA_X2_I0+0+2+0:vgprValuA_X2_I0+0+2+0+1], a[64:79]
/*  mfmaIndex:53  */
_ds_load_b128 v[vgprValuB_X0_I0+4:vgprValuB_X0_I0+4+3], v[vgprLocalReadAddrB] offset:64 // L -> Reg lro=0 swapByteOffset=0 ti=128 vIdx=0 rIdx=0 oIdx=0 buffer=0 iui=0
v_mfma_f32_32x32x16_fp8_fp8 a[80+0:95+0], v[vgprValuB_X2_I0+8+2+0:vgprValuB_X2_I0+8+2+0+1], v[vgprValuA_X2_I0+4+2+0:vgprValuA_X2_I0+4+2+0+1], a[80:95]
/*  mfmaIndex:54  */
_ds_load_b128 v[vgprValuB_X0_I0+8:vgprValuB_X0_I0+8+3], v[vgprLocalReadAddrB] offset:144 // L -> Reg lro=0 swapByteOffset=0 ti=128 vIdx=0 rIdx=0 oIdx=0 buffer=0 iui=0
	;; [unrolled: 3-line block ×7, first 2 shown]
v_mfma_f32_32x32x16_fp8_fp8 a[160+0:175+0], v[vgprValuB_X2_I0+20+2+0:vgprValuB_X2_I0+20+2+0+1], v[vgprValuA_X2_I0+0+2+0:vgprValuA_X2_I0+0+2+0+1], a[160:175]
/*  mfmaIndex:60  */
v_mfma_f32_32x32x16_fp8_fp8 a[192+0:207+0], v[vgprValuB_X2_I0+24+2+0:vgprValuB_X2_I0+24+2+0+1], v[vgprValuA_X2_I0+0+2+0:vgprValuA_X2_I0+0+2+0+1], a[192:207]
/*  mfmaIndex:61  */
	;; [unrolled: 2-line block ×4, first 2 shown]
v_mfma_f32_32x32x16_fp8_fp8 a[224+0:239+0], v[vgprValuB_X2_I0+28+2+0:vgprValuB_X2_I0+28+2+0+1], v[vgprValuA_X2_I0+0+2+0:vgprValuA_X2_I0+0+2+0+1], a[224:239]


/******************************************/
/* Unrolled Loop - End 2/2 (final)        */
/******************************************/


/* closeLoop loopL finalLoop=1 tailLoop=0 */
s_sub_u32 s[sgprLoopCounterL], s[sgprLoopCounterL], 1 // dec counterL
s_cmp_eq_i32 s[sgprLoopCounterL], 0x2              // counterL==2
s_cbranch_scc0 LoopBeginL_1                        // restart LoopL
LoopEndL_evenexit_4: // unroll loop eveniter exit
s_branch LoopEndL_2                                // exit unroll loopL (and skip second exit code)
LoopEndL_oddexit_3: // unroll loop odditer exit

/* Select high bank of LDS */
LoopEndL_2:


/* Before NLL: Check VGPR.checkin for INT8 LW */


/******************************************/
/* Ord. NoGlobalLoadLoop - Begin                                      */
/******************************************/


	;; [unrolled: 1-line block ×3, first 2 shown]
/* iter 0 */

/*  grEndMfmaIndex:6, lwStartMfmaIndex:16, lwEndMfmaIndex:48  */
/*  numMfmaForLR:14, barrierMfmaIndex:49, LocalWritePerMfma:0.225 */
/*  mfmaIndex:0  */
s_waitcnt lgkmcnt(0)                               // lgkmcnt=0 vmcnt=-1wait for prior local read local write old=0, new=0 newLW=0 newLR=0
v_mfma_f32_32x32x16_fp8_fp8 a[0+0:15+0], v[vgprValuB_X0_I0+0+0+0:vgprValuB_X0_I0+0+0+0+1], v[vgprValuA_X0_I0+0+0+0:vgprValuA_X0_I0+0+0+0+1], a[0:15]
/*  mfmaIndex:1  */
_ds_load_b128 v[vgprValuA_X2_I0+0:vgprValuA_X2_I0+0+3], v[vgprLocalReadAddrA] offset:32 // L -> Reg lro=32 swapByteOffset=0 ti=256 vIdx=0 rIdx=0 oIdx=0 buffer=2 iui=0

/* global read inc A loopL */
s_cmp_eq_u32 s[sgprLoopCounterL], s[sgprStaggerUIter] // Is this the wrapIter?
s_cselect_b32 s64, s[sgprWrapUA+0], s[sgprGlobalReadIncsA+0] // incLower <- ?
s_cselect_b32 s65, s[sgprWrapUA+1], 0              // incUpper <- ?
v_mfma_f32_32x32x16_fp8_fp8 a[16+0:31+0], v[vgprValuB_X0_I0+0+0+0:vgprValuB_X0_I0+0+0+0+1], v[vgprValuA_X0_I0+4+0+0:vgprValuA_X0_I0+4+0+0+1], a[16:31]
/*  mfmaIndex:2  */
_ds_load_b128 v[vgprValuB_X2_I0+0:vgprValuB_X2_I0+0+3], v[vgprLocalReadAddrB] offset:32 // L -> Reg lro=32 swapByteOffset=0 ti=128 vIdx=0 rIdx=0 oIdx=0 buffer=2 iui=0
s_add_u32 s[sgprSrdA+0], s[sgprSrdA+0], s64        // gra SRD += inc(lower)
s_addc_u32  s[sgprSrdA+1], s[sgprSrdA+1], s65      // gra SRD += inc(upper)
s_sub_u32 s[sgprShadowLimitA+0], s[sgprShadowLimitA+0], s64 // limit -= inc)
v_mfma_f32_32x32x16_fp8_fp8 a[48+0:63+0], v[vgprValuB_X0_I0+4+0+0:vgprValuB_X0_I0+4+0+0+1], v[vgprValuA_X0_I0+4+0+0:vgprValuA_X0_I0+4+0+0+1], a[48:63]
/*  mfmaIndex:3  */
_ds_load_b128 v[vgprValuA_X2_I0+4:vgprValuA_X2_I0+4+3], v[vgprLocalReadAddrA] offset:96 // L -> Reg lro=32 swapByteOffset=0 ti=256 vIdx=0 rIdx=0 oIdx=0 buffer=2 iui=0
s_subb_u32 s[sgprShadowLimitA+1], s[sgprShadowLimitA+1], s65 // limit -= inc)
s_cmp_eq_u32 s[sgprShadowLimitA+1], 0              // are we within 2^32?
s_cselect_b32 s[sgprSrdA+2], s[sgprShadowLimitA+0], BufferLimitA // Move shadow to real if we are within 2^32
v_mfma_f32_32x32x16_fp8_fp8 a[32+0:47+0], v[vgprValuB_X0_I0+4+0+0:vgprValuB_X0_I0+4+0+0+1], v[vgprValuA_X0_I0+0+0+0:vgprValuA_X0_I0+0+0+0+1], a[32:47]
/*  mfmaIndex:4  */
_ds_load_b128 v[vgprValuB_X2_I0+4:vgprValuB_X2_I0+4+3], v[vgprLocalReadAddrB] offset:96 // L -> Reg lro=32 swapByteOffset=0 ti=128 vIdx=0 rIdx=0 oIdx=0 buffer=2 iui=0

/* global read inc B loopL */
s_cmp_eq_u32 s[sgprLoopCounterL], s[sgprStaggerUIter] // Is this the wrapIter?
s_cselect_b32 s64, s[sgprWrapUB+0], s[sgprGlobalReadIncsB+0] // incLower <- ?
s_cselect_b32 s65, s[sgprWrapUB+1], 0              // incUpper <- ?
v_mfma_f32_32x32x16_fp8_fp8 a[64+0:79+0], v[vgprValuB_X0_I0+8+0+0:vgprValuB_X0_I0+8+0+0+1], v[vgprValuA_X0_I0+0+0+0:vgprValuA_X0_I0+0+0+0+1], a[64:79]
/*  mfmaIndex:5  */
_ds_load_b128 v[vgprValuB_X2_I0+8:vgprValuB_X2_I0+8+3], v[vgprLocalReadAddrB] offset:176 // L -> Reg lro=32 swapByteOffset=0 ti=128 vIdx=0 rIdx=0 oIdx=0 buffer=2 iui=0
s_add_u32 s[sgprSrdB+0], s[sgprSrdB+0], s64        // gra SRD += inc(lower)
s_addc_u32  s[sgprSrdB+1], s[sgprSrdB+1], s65      // gra SRD += inc(upper)
s_sub_u32 s[sgprShadowLimitB+0], s[sgprShadowLimitB+0], s64 // limit -= inc)
v_mfma_f32_32x32x16_fp8_fp8 a[80+0:95+0], v[vgprValuB_X0_I0+8+0+0:vgprValuB_X0_I0+8+0+0+1], v[vgprValuA_X0_I0+4+0+0:vgprValuA_X0_I0+4+0+0+1], a[80:95]
/*  mfmaIndex:6  */
_ds_load_b128 v[vgprValuB_X2_I0+12:vgprValuB_X2_I0+12+3], v[vgprLocalReadAddrB] offset:240 // L -> Reg lro=32 swapByteOffset=0 ti=128 vIdx=0 rIdx=0 oIdx=0 buffer=2 iui=0
s_subb_u32 s[sgprShadowLimitB+1], s[sgprShadowLimitB+1], s65 // limit -= inc)
s_cmp_eq_u32 s[sgprShadowLimitB+1], 0              // are we within 2^32?
s_cselect_b32 s[sgprSrdB+2], s[sgprShadowLimitB+0], BufferLimitB // Move shadow to real if we are within 2^32
v_mfma_f32_32x32x16_fp8_fp8 a[112+0:127+0], v[vgprValuB_X0_I0+12+0+0:vgprValuB_X0_I0+12+0+0+1], v[vgprValuA_X0_I0+4+0+0:vgprValuA_X0_I0+4+0+0+1], a[112:127]
/*  mfmaIndex:7  */
_ds_load_b128 v[vgprValuB_X2_I0+16:vgprValuB_X2_I0+16+3], v[vgprLocalReadAddrB] offset:9248 // L -> Reg lro=32 swapByteOffset=0 ti=128 vIdx=1 rIdx=0 oIdx=0 buffer=2 iui=0
v_mfma_f32_32x32x16_fp8_fp8 a[96+0:111+0], v[vgprValuB_X0_I0+12+0+0:vgprValuB_X0_I0+12+0+0+1], v[vgprValuA_X0_I0+0+0+0:vgprValuA_X0_I0+0+0+0+1], a[96:111]
/*  mfmaIndex:8  */
_ds_load_b128 v[vgprValuB_X2_I0+20:vgprValuB_X2_I0+20+3], v[vgprLocalReadAddrB] offset:9312 // L -> Reg lro=32 swapByteOffset=0 ti=128 vIdx=1 rIdx=0 oIdx=0 buffer=2 iui=0
	;; [unrolled: 3-line block ×4, first 2 shown]
/* localReadsVacancy: latencyLeft 2 */
v_mfma_f32_32x32x16_fp8_fp8 a[176+0:191+0], v[vgprValuB_X0_I0+20+0+0:vgprValuB_X0_I0+20+0+0+1], v[vgprValuA_X0_I0+4+0+0:vgprValuA_X0_I0+4+0+0+1], a[176:191]
/*  mfmaIndex:11  */
/* localReadsVacancy: latencyLeft 6 */
v_mfma_f32_32x32x16_fp8_fp8 a[160+0:175+0], v[vgprValuB_X0_I0+20+0+0:vgprValuB_X0_I0+20+0+0+1], v[vgprValuA_X0_I0+0+0+0:vgprValuA_X0_I0+0+0+0+1], a[160:175]
/*  mfmaIndex:12  */
	;; [unrolled: 3-line block ×5, first 2 shown]
/* localReadsVacancy: latencyLeft 6 */
/* 1 LDS buffer: read-sync-write */
s_waitcnt lgkmcnt(0)                               // 
s_barrier                                          // 
v_mfma_f32_32x32x16_fp8_fp8 a[224+0:239+0], v[vgprValuB_X0_I0+28+0+0:vgprValuB_X0_I0+28+0+0+1], v[vgprValuA_X0_I0+0+0+0:vgprValuA_X0_I0+0+0+0+1], a[224:239]
/* numPrefetchIter=0 */
/* dataAtIterA=-1 numReadsIterA=1 skipReadsIterA=1 readsPerIterA=2 */
/* dataAtIterB=-1 numReadsIterB=1 skipReadsIterB=1 readsPerIterB=8 */


/* iter 1 */

/*  grEndMfmaIndex:6, lwStartMfmaIndex:16, lwEndMfmaIndex:48  */
/*  numMfmaForLR:14, barrierMfmaIndex:49, LocalWritePerMfma:0.225 */
/*  mfmaIndex:16  */
/* sched write - iter 1 writesPerItem=1 */
s_waitcnt vmcnt(0)                                 // lgkmcnt=-1 vmcnt=0wait for global read before writing to local
_ds_store_b128 v[vgprLocalWriteAddrA], v[vgprG2LA+0:vgprG2LA+0+3] offset:0 // lwoA_0_0_0_0 = (0*LSCA)*(MT0I+PAD) + (0*LSPA) = 0
s_waitcnt lgkmcnt(11)                              // lgkmcnt=0 vmcnt=-1wait for prior local read local write old=0, new=11 newLW=1 newLR=10
v_mfma_f32_32x32x16_fp8_fp8 a[0+0:15+0], v[vgprValuB_X0_I0+0+2+0:vgprValuB_X0_I0+0+2+0+1], v[vgprValuA_X0_I0+0+2+0:vgprValuA_X0_I0+0+2+0+1], a[0:15]
/*  mfmaIndex:17  */
v_mfma_f32_32x32x16_fp8_fp8 a[16+0:31+0], v[vgprValuB_X0_I0+0+2+0:vgprValuB_X0_I0+0+2+0+1], v[vgprValuA_X0_I0+4+2+0:vgprValuA_X0_I0+4+2+0+1], a[16:31]
/*  mfmaIndex:18  */
	;; [unrolled: 2-line block ×4, first 2 shown]
/* sched write - iter 1 writesPerItem=1 */
s_waitcnt vmcnt(0)                                 // lgkmcnt=-1 vmcnt=0wait for global read before writing to local
_ds_store_b128 v[vgprLocalWriteAddrA], v[vgprG2LA+4:vgprG2LA+4+3] offset:4608 // lwoA_0_0_1_0 = (0*LSCA)*(MT0I+PAD) + (1*LSPA) = 4608
v_mfma_f32_32x32x16_fp8_fp8 a[64+0:79+0], v[vgprValuB_X0_I0+8+2+0:vgprValuB_X0_I0+8+2+0+1], v[vgprValuA_X0_I0+0+2+0:vgprValuA_X0_I0+0+2+0+1], a[64:79]
/*  mfmaIndex:21  */
v_mfma_f32_32x32x16_fp8_fp8 a[80+0:95+0], v[vgprValuB_X0_I0+8+2+0:vgprValuB_X0_I0+8+2+0+1], v[vgprValuA_X0_I0+4+2+0:vgprValuA_X0_I0+4+2+0+1], a[80:95]
/*  mfmaIndex:22  */
	;; [unrolled: 2-line block ×4, first 2 shown]
/* sched write - iter 1 writesPerItem=1 */
s_waitcnt vmcnt(0)                                 // lgkmcnt=-1 vmcnt=0wait for global read before writing to local
_ds_store_b128 v[vgprLocalWriteAddrA], v[vgprG2LA+8:vgprG2LA+8+3] offset:9216 // lwoA_0_0_2_0 = (0*LSCA)*(MT0I+PAD) + (2*LSPA) = 9216
v_mfma_f32_32x32x16_fp8_fp8 a[128+0:143+0], v[vgprValuB_X0_I0+16+2+0:vgprValuB_X0_I0+16+2+0+1], v[vgprValuA_X0_I0+0+2+0:vgprValuA_X0_I0+0+2+0+1], a[128:143]
/*  mfmaIndex:25  */
v_mfma_f32_32x32x16_fp8_fp8 a[144+0:159+0], v[vgprValuB_X0_I0+16+2+0:vgprValuB_X0_I0+16+2+0+1], v[vgprValuA_X0_I0+4+2+0:vgprValuA_X0_I0+4+2+0+1], a[144:159]
/*  mfmaIndex:26  */
	;; [unrolled: 2-line block ×5, first 2 shown]
/* sched write - iter 1 writesPerItem=1 */
s_waitcnt vmcnt(0)                                 // lgkmcnt=-1 vmcnt=0wait for global read before writing to local
_ds_store_b128 v[vgprLocalWriteAddrA], v[vgprG2LA+12:vgprG2LA+12+3] offset:13824 // lwoA_0_0_3_0 = (0*LSCA)*(MT0I+PAD) + (3*LSPA) = 13824
v_mfma_f32_32x32x16_fp8_fp8 a[208+0:223+0], v[vgprValuB_X0_I0+24+2+0:vgprValuB_X0_I0+24+2+0+1], v[vgprValuA_X0_I0+4+2+0:vgprValuA_X0_I0+4+2+0+1], a[208:223]
/*  mfmaIndex:30  */
v_mfma_f32_32x32x16_fp8_fp8 a[240+0:255+0], v[vgprValuB_X0_I0+28+2+0:vgprValuB_X0_I0+28+2+0+1], v[vgprValuA_X0_I0+4+2+0:vgprValuA_X0_I0+4+2+0+1], a[240:255]
/*  mfmaIndex:31  */
v_mfma_f32_32x32x16_fp8_fp8 a[224+0:239+0], v[vgprValuB_X0_I0+28+2+0:vgprValuB_X0_I0+28+2+0+1], v[vgprValuA_X0_I0+0+2+0:vgprValuA_X0_I0+0+2+0+1], a[224:239]
/* numPrefetchIter=0 */
/* dataAtIterA=-1 numReadsIterA=1 skipReadsIterA=1 readsPerIterA=2 */
/* dataAtIterB=-1 numReadsIterB=1 skipReadsIterB=1 readsPerIterB=8 */


/* iter 2 (reset local read pointers iteration)  (swap local read pointers iteration)  */

/*  grEndMfmaIndex:6, lwStartMfmaIndex:16, lwEndMfmaIndex:48  */
/*  numMfmaForLR:14, barrierMfmaIndex:49, LocalWritePerMfma:0.225 */
/*  mfmaIndex:32  */
v_mfma_f32_32x32x16_fp8_fp8 a[0+0:15+0], v[vgprValuB_X2_I0+0+0+0:vgprValuB_X2_I0+0+0+0+1], v[vgprValuA_X2_I0+0+0+0:vgprValuA_X2_I0+0+0+0+1], a[0:15]
/*  mfmaIndex:33  */
/* sched write - iter 2 writesPerItem=1 */
s_waitcnt vmcnt(0)                                 // lgkmcnt=-1 vmcnt=0wait for global read before writing to local
_ds_store_b128 v[vgprLocalWriteAddrB], v[vgprG2LB+0:vgprG2LB+0+3] offset:0 // lwoB_0_0_0_0 = (0*LSCB)*(MT1J+PAD) + (0*LSPB) = 0
v_mfma_f32_32x32x16_fp8_fp8 a[16+0:31+0], v[vgprValuB_X2_I0+0+0+0:vgprValuB_X2_I0+0+0+0+1], v[vgprValuA_X2_I0+4+0+0:vgprValuA_X2_I0+4+0+0+1], a[16:31]
/*  mfmaIndex:34  */
v_mfma_f32_32x32x16_fp8_fp8 a[48+0:63+0], v[vgprValuB_X2_I0+4+0+0:vgprValuB_X2_I0+4+0+0+1], v[vgprValuA_X2_I0+4+0+0:vgprValuA_X2_I0+4+0+0+1], a[48:63]
/*  mfmaIndex:35  */
	;; [unrolled: 2-line block ×5, first 2 shown]
/* sched write - iter 2 writesPerItem=1 */
s_waitcnt vmcnt(0)                                 // lgkmcnt=-1 vmcnt=0wait for global read before writing to local
_ds_store_b128 v[vgprLocalWriteAddrB], v[vgprG2LB+4:vgprG2LB+4+3] offset:4608 // lwoB_0_0_1_0 = (0*LSCB)*(MT1J+PAD) + (1*LSPB) = 4608
v_mfma_f32_32x32x16_fp8_fp8 a[112+0:127+0], v[vgprValuB_X2_I0+12+0+0:vgprValuB_X2_I0+12+0+0+1], v[vgprValuA_X2_I0+4+0+0:vgprValuA_X2_I0+4+0+0+1], a[112:127]
/*  mfmaIndex:39  */
v_mfma_f32_32x32x16_fp8_fp8 a[96+0:111+0], v[vgprValuB_X2_I0+12+0+0:vgprValuB_X2_I0+12+0+0+1], v[vgprValuA_X2_I0+0+0+0:vgprValuA_X2_I0+0+0+0+1], a[96:111]
/*  mfmaIndex:40  */
v_mfma_f32_32x32x16_fp8_fp8 a[128+0:143+0], v[vgprValuB_X2_I0+16+0+0:vgprValuB_X2_I0+16+0+0+1], v[vgprValuA_X2_I0+0+0+0:vgprValuA_X2_I0+0+0+0+1], a[128:143]
/*  mfmaIndex:41  */
v_mfma_f32_32x32x16_fp8_fp8 a[144+0:159+0], v[vgprValuB_X2_I0+16+0+0:vgprValuB_X2_I0+16+0+0+1], v[vgprValuA_X2_I0+4+0+0:vgprValuA_X2_I0+4+0+0+1], a[144:159]
/*  mfmaIndex:42  */
/* sched write - iter 2 writesPerItem=1 */
s_waitcnt vmcnt(0)                                 // lgkmcnt=-1 vmcnt=0wait for global read before writing to local
_ds_store_b128 v[vgprLocalWriteAddrB], v[vgprG2LB+8:vgprG2LB+8+3] offset:9216 // lwoB_0_0_2_0 = (0*LSCB)*(MT1J+PAD) + (2*LSPB) = 9216
v_mfma_f32_32x32x16_fp8_fp8 a[176+0:191+0], v[vgprValuB_X2_I0+20+0+0:vgprValuB_X2_I0+20+0+0+1], v[vgprValuA_X2_I0+4+0+0:vgprValuA_X2_I0+4+0+0+1], a[176:191]
/*  mfmaIndex:43  */
v_mfma_f32_32x32x16_fp8_fp8 a[160+0:175+0], v[vgprValuB_X2_I0+20+0+0:vgprValuB_X2_I0+20+0+0+1], v[vgprValuA_X2_I0+0+0+0:vgprValuA_X2_I0+0+0+0+1], a[160:175]
/*  mfmaIndex:44  */
	;; [unrolled: 2-line block ×5, first 2 shown]
/* sched write - iter 2 writesPerItem=1 */
s_waitcnt vmcnt(0)                                 // lgkmcnt=-1 vmcnt=0wait for global read before writing to local
_ds_store_b128 v[vgprLocalWriteAddrB], v[vgprG2LB+12:vgprG2LB+12+3] offset:13824 // lwoB_0_0_3_0 = (0*LSCB)*(MT1J+PAD) + (3*LSPB) = 13824

/* local read swap offsets a */

/* local read swap offsets b */

/* local read init pointers a */

/* localReadInitPointers */

/* local read init pointers b */

/* localReadInitPointers */
v_mfma_f32_32x32x16_fp8_fp8 a[224+0:239+0], v[vgprValuB_X2_I0+28+0+0:vgprValuB_X2_I0+28+0+0+1], v[vgprValuA_X2_I0+0+0+0:vgprValuA_X2_I0+0+0+0+1], a[224:239]


/* iter 3 (swap and reset local write pointers iteration)  */

/*  grEndMfmaIndex:6, lwStartMfmaIndex:16, lwEndMfmaIndex:48  */
/*  numMfmaForLR:14, barrierMfmaIndex:49, LocalWritePerMfma:0.225 */
/*  mfmaIndex:48  */

/* local write swap offsets a */

/* local write swap offsets b */
v_mfma_f32_32x32x16_fp8_fp8 a[0+0:15+0], v[vgprValuB_X2_I0+0+2+0:vgprValuB_X2_I0+0+2+0+1], v[vgprValuA_X2_I0+0+2+0:vgprValuA_X2_I0+0+2+0+1], a[0:15]
/*  mfmaIndex:49  */
s_waitcnt lgkmcnt(0)                               // lgkmcnt=0 vmcnt=-13wait for local write
// Skip force waitcnt0
s_barrier //
v_mfma_f32_32x32x16_fp8_fp8 a[16+0:31+0], v[vgprValuB_X2_I0+0+2+0:vgprValuB_X2_I0+0+2+0+1], v[vgprValuA_X2_I0+4+2+0:vgprValuA_X2_I0+4+2+0+1], a[16:31]
/*  mfmaIndex:50  */
_ds_load_b128 v[vgprValuA_X0_I0+0:vgprValuA_X0_I0+0+3], v[vgprLocalReadAddrA] offset:0 // L -> Reg lro=0 swapByteOffset=0 ti=256 vIdx=0 rIdx=0 oIdx=0 buffer=0 iui=0
v_mfma_f32_32x32x16_fp8_fp8 a[48+0:63+0], v[vgprValuB_X2_I0+4+2+0:vgprValuB_X2_I0+4+2+0+1], v[vgprValuA_X2_I0+4+2+0:vgprValuA_X2_I0+4+2+0+1], a[48:63]
/*  mfmaIndex:51  */
_ds_load_b128 v[vgprValuB_X0_I0+0:vgprValuB_X0_I0+0+3], v[vgprLocalReadAddrB] offset:0 // L -> Reg lro=0 swapByteOffset=0 ti=128 vIdx=0 rIdx=0 oIdx=0 buffer=0 iui=0
v_mfma_f32_32x32x16_fp8_fp8 a[32+0:47+0], v[vgprValuB_X2_I0+4+2+0:vgprValuB_X2_I0+4+2+0+1], v[vgprValuA_X2_I0+0+2+0:vgprValuA_X2_I0+0+2+0+1], a[32:47]
/*  mfmaIndex:52  */
_ds_load_b128 v[vgprValuA_X0_I0+4:vgprValuA_X0_I0+4+3], v[vgprLocalReadAddrA] offset:64 // L -> Reg lro=0 swapByteOffset=0 ti=256 vIdx=0 rIdx=0 oIdx=0 buffer=0 iui=0
v_mfma_f32_32x32x16_fp8_fp8 a[64+0:79+0], v[vgprValuB_X2_I0+8+2+0:vgprValuB_X2_I0+8+2+0+1], v[vgprValuA_X2_I0+0+2+0:vgprValuA_X2_I0+0+2+0+1], a[64:79]
/*  mfmaIndex:53  */
_ds_load_b128 v[vgprValuB_X0_I0+4:vgprValuB_X0_I0+4+3], v[vgprLocalReadAddrB] offset:64 // L -> Reg lro=0 swapByteOffset=0 ti=128 vIdx=0 rIdx=0 oIdx=0 buffer=0 iui=0
v_mfma_f32_32x32x16_fp8_fp8 a[80+0:95+0], v[vgprValuB_X2_I0+8+2+0:vgprValuB_X2_I0+8+2+0+1], v[vgprValuA_X2_I0+4+2+0:vgprValuA_X2_I0+4+2+0+1], a[80:95]
/*  mfmaIndex:54  */
_ds_load_b128 v[vgprValuB_X0_I0+8:vgprValuB_X0_I0+8+3], v[vgprLocalReadAddrB] offset:144 // L -> Reg lro=0 swapByteOffset=0 ti=128 vIdx=0 rIdx=0 oIdx=0 buffer=0 iui=0
	;; [unrolled: 3-line block ×7, first 2 shown]
v_mfma_f32_32x32x16_fp8_fp8 a[160+0:175+0], v[vgprValuB_X2_I0+20+2+0:vgprValuB_X2_I0+20+2+0+1], v[vgprValuA_X2_I0+0+2+0:vgprValuA_X2_I0+0+2+0+1], a[160:175]
/*  mfmaIndex:60  */
v_mfma_f32_32x32x16_fp8_fp8 a[192+0:207+0], v[vgprValuB_X2_I0+24+2+0:vgprValuB_X2_I0+24+2+0+1], v[vgprValuA_X2_I0+0+2+0:vgprValuA_X2_I0+0+2+0+1], a[192:207]
/*  mfmaIndex:61  */
	;; [unrolled: 2-line block ×4, first 2 shown]
v_mfma_f32_32x32x16_fp8_fp8 a[224+0:239+0], v[vgprValuB_X2_I0+28+2+0:vgprValuB_X2_I0+28+2+0+1], v[vgprValuA_X2_I0+0+2+0:vgprValuA_X2_I0+0+2+0+1], a[224:239]

label_0014:


/******************************************/
/* Opt. NoLoadLoop Without PAP - Begin                                      */
/******************************************/

s_cmpk_eq_u32 s[sgprBeta], 0x0                     // Beta == 0
s_cbranch_scc0 OptNLL_End_17                       // Branch if Beta is not zero

s_cmp_eq_u32 s[sgprAlpha], 1.0                     // Alpha == 1.0 ?
s_cbranch_scc0 OptNLL_End_17                       // branch if alpha != 1

s_and_b32 s64, 255, s[sgprSizeI]                   // s64 = s[sgprSizeI] % 256
s_add_u32 s65, -0x1, s[sgprNumWorkGroups0]         // 
s_cmp_ge_u32 s[sgprWorkGroup0], s65                // wg0 >= nwg0-1 ?
s_cselect_b32 s64, s64, 0                          // set rMT0
s_cmpk_gt_u32 s64, 0x0                             // rMT0 > 0
s_cbranch_scc1 OptNLL_End_17                       // jump if edges required
s_and_b32 s64, 255, s[sgprSizeJ]                   // s64 = s[sgprSizeJ] % 256
s_add_u32 s65, -0x1, s[sgprNumWorkGroups1]         // 
s_cmp_ge_u32 s[sgprWorkGroup1], s65                // wg1 >= nwg1-1
s_cselect_b32 s64, s64, 0                          // set rMT1
s_cmpk_gt_u32 s64, 0x0                             // rMT1 > 0
s_cbranch_scc1 OptNLL_End_17                       // jump if edges required

s_and_b32 s65, 63, s[sgprSizesSum+0]               // s65 = s[sgprSizesSum+0] % 64
s_cmp_eq_u32 s65, 0x0                              // numIterL == 0
s_cbranch_scc0 OptNLL_End_17                       // skip if tail loop required


	;; [unrolled: 1-line block ×3, first 2 shown]
/* iter 0 (last unrolled loop) */

/*  grEndMfmaIndex:0, lwStartMfmaIndex:48, lwEndMfmaIndex:48  */
/*  numMfmaForLR:14, barrierMfmaIndex:49, LocalWritePerMfma:0.225 */
/*  mfmaIndex:0  */
s_waitcnt lgkmcnt(0)                               // lgkmcnt=0 vmcnt=-1wait for prior local read local write old=0, new=0 newLW=0 newLR=0
v_mfma_f32_32x32x16_fp8_fp8 a[0+0:15+0], v[vgprValuB_X0_I0+0+0+0:vgprValuB_X0_I0+0+0+0+1], v[vgprValuA_X0_I0+0+0+0:vgprValuA_X0_I0+0+0+0+1], a[0:15]
/*  mfmaIndex:1  */
_ds_load_b128 v[vgprValuA_X2_I0+0:vgprValuA_X2_I0+0+3], v[vgprLocalReadAddrA] offset:32 // L -> Reg lro=32 swapByteOffset=0 ti=256 vIdx=0 rIdx=0 oIdx=0 buffer=2 iui=0
v_mfma_f32_32x32x16_fp8_fp8 a[16+0:31+0], v[vgprValuB_X0_I0+0+0+0:vgprValuB_X0_I0+0+0+0+1], v[vgprValuA_X0_I0+4+0+0:vgprValuA_X0_I0+4+0+0+1], a[16:31]
/*  mfmaIndex:2  */
_ds_load_b128 v[vgprValuB_X2_I0+0:vgprValuB_X2_I0+0+3], v[vgprLocalReadAddrB] offset:32 // L -> Reg lro=32 swapByteOffset=0 ti=128 vIdx=0 rIdx=0 oIdx=0 buffer=2 iui=0
v_mfma_f32_32x32x16_fp8_fp8 a[48+0:63+0], v[vgprValuB_X0_I0+4+0+0:vgprValuB_X0_I0+4+0+0+1], v[vgprValuA_X0_I0+4+0+0:vgprValuA_X0_I0+4+0+0+1], a[48:63]
/*  mfmaIndex:3  */
_ds_load_b128 v[vgprValuA_X2_I0+4:vgprValuA_X2_I0+4+3], v[vgprLocalReadAddrA] offset:96 // L -> Reg lro=32 swapByteOffset=0 ti=256 vIdx=0 rIdx=0 oIdx=0 buffer=2 iui=0
v_mfma_f32_32x32x16_fp8_fp8 a[32+0:47+0], v[vgprValuB_X0_I0+4+0+0:vgprValuB_X0_I0+4+0+0+1], v[vgprValuA_X0_I0+0+0+0:vgprValuA_X0_I0+0+0+0+1], a[32:47]
/*  mfmaIndex:4  */
_ds_load_b128 v[vgprValuB_X2_I0+4:vgprValuB_X2_I0+4+3], v[vgprLocalReadAddrB] offset:96 // L -> Reg lro=32 swapByteOffset=0 ti=128 vIdx=0 rIdx=0 oIdx=0 buffer=2 iui=0
v_mfma_f32_32x32x16_fp8_fp8 a[64+0:79+0], v[vgprValuB_X0_I0+8+0+0:vgprValuB_X0_I0+8+0+0+1], v[vgprValuA_X0_I0+0+0+0:vgprValuA_X0_I0+0+0+0+1], a[64:79]
/*  mfmaIndex:5  */
_ds_load_b128 v[vgprValuB_X2_I0+8:vgprValuB_X2_I0+8+3], v[vgprLocalReadAddrB] offset:176 // L -> Reg lro=32 swapByteOffset=0 ti=128 vIdx=0 rIdx=0 oIdx=0 buffer=2 iui=0
v_mfma_f32_32x32x16_fp8_fp8 a[80+0:95+0], v[vgprValuB_X0_I0+8+0+0:vgprValuB_X0_I0+8+0+0+1], v[vgprValuA_X0_I0+4+0+0:vgprValuA_X0_I0+4+0+0+1], a[80:95]
/*  mfmaIndex:6  */
_ds_load_b128 v[vgprValuB_X2_I0+12:vgprValuB_X2_I0+12+3], v[vgprLocalReadAddrB] offset:240 // L -> Reg lro=32 swapByteOffset=0 ti=128 vIdx=0 rIdx=0 oIdx=0 buffer=2 iui=0
v_mfma_f32_32x32x16_fp8_fp8 a[112+0:127+0], v[vgprValuB_X0_I0+12+0+0:vgprValuB_X0_I0+12+0+0+1], v[vgprValuA_X0_I0+4+0+0:vgprValuA_X0_I0+4+0+0+1], a[112:127]
/*  mfmaIndex:7  */
_ds_load_b128 v[vgprValuB_X2_I0+16:vgprValuB_X2_I0+16+3], v[vgprLocalReadAddrB] offset:9248 // L -> Reg lro=32 swapByteOffset=0 ti=128 vIdx=1 rIdx=0 oIdx=0 buffer=2 iui=0
v_mfma_f32_32x32x16_fp8_fp8 a[96+0:111+0], v[vgprValuB_X0_I0+12+0+0:vgprValuB_X0_I0+12+0+0+1], v[vgprValuA_X0_I0+0+0+0:vgprValuA_X0_I0+0+0+0+1], a[96:111]
/*  mfmaIndex:8  */
_ds_load_b128 v[vgprValuB_X2_I0+20:vgprValuB_X2_I0+20+3], v[vgprLocalReadAddrB] offset:9312 // L -> Reg lro=32 swapByteOffset=0 ti=128 vIdx=1 rIdx=0 oIdx=0 buffer=2 iui=0
v_mfma_f32_32x32x16_fp8_fp8 a[128+0:143+0], v[vgprValuB_X0_I0+16+0+0:vgprValuB_X0_I0+16+0+0+1], v[vgprValuA_X0_I0+0+0+0:vgprValuA_X0_I0+0+0+0+1], a[128:143]
/*  mfmaIndex:9  */
_ds_load_b128 v[vgprValuB_X2_I0+24:vgprValuB_X2_I0+24+3], v[vgprLocalReadAddrB] offset:9392 // L -> Reg lro=32 swapByteOffset=0 ti=128 vIdx=1 rIdx=0 oIdx=0 buffer=2 iui=0
v_mfma_f32_32x32x16_fp8_fp8 a[144+0:159+0], v[vgprValuB_X0_I0+16+0+0:vgprValuB_X0_I0+16+0+0+1], v[vgprValuA_X0_I0+4+0+0:vgprValuA_X0_I0+4+0+0+1], a[144:159]
/*  mfmaIndex:10  */
_ds_load_b128 v[vgprValuB_X2_I0+28:vgprValuB_X2_I0+28+3], v[vgprLocalReadAddrB] offset:9456 // L -> Reg lro=32 swapByteOffset=0 ti=128 vIdx=1 rIdx=0 oIdx=0 buffer=2 iui=0
/* localReadsVacancy: latencyLeft 2 */
v_mfma_f32_32x32x16_fp8_fp8 a[176+0:191+0], v[vgprValuB_X0_I0+20+0+0:vgprValuB_X0_I0+20+0+0+1], v[vgprValuA_X0_I0+4+0+0:vgprValuA_X0_I0+4+0+0+1], a[176:191]
/*  mfmaIndex:11  */
/* localReadsVacancy: latencyLeft 6 */
v_mfma_f32_32x32x16_fp8_fp8 a[160+0:175+0], v[vgprValuB_X0_I0+20+0+0:vgprValuB_X0_I0+20+0+0+1], v[vgprValuA_X0_I0+0+0+0:vgprValuA_X0_I0+0+0+0+1], a[160:175]
/*  mfmaIndex:12  */
	;; [unrolled: 3-line block ×5, first 2 shown]
/* localReadsVacancy: latencyLeft 6 */
v_mfma_f32_32x32x16_fp8_fp8 a[224+0:239+0], v[vgprValuB_X0_I0+28+0+0:vgprValuB_X0_I0+28+0+0+1], v[vgprValuA_X0_I0+0+0+0:vgprValuA_X0_I0+0+0+0+1], a[224:239]
/* numPrefetchIter=0 */
/* dataAtIterA=-1 numReadsIterA=1 skipReadsIterA=1 readsPerIterA=2 */
/* dataAtIterB=-1 numReadsIterB=1 skipReadsIterB=1 readsPerIterB=8 */


/* iter 1 (last unrolled loop) */

/*  grEndMfmaIndex:0, lwStartMfmaIndex:48, lwEndMfmaIndex:48  */
/*  numMfmaForLR:14, barrierMfmaIndex:49, LocalWritePerMfma:0.225 */
/*  mfmaIndex:16  */
/* localReadsVacancy: latencyLeft 6 */
s_waitcnt lgkmcnt(10)                              // lgkmcnt=0 vmcnt=-1wait for prior local read local write old=0, new=10 newLW=0 newLR=10
v_mfma_f32_32x32x16_fp8_fp8 a[0+0:15+0], v[vgprValuB_X0_I0+0+2+0:vgprValuB_X0_I0+0+2+0+1], v[vgprValuA_X0_I0+0+2+0:vgprValuA_X0_I0+0+2+0+1], a[0:15]
/*  mfmaIndex:17  */
/* localReadsVacancy: latencyLeft 6 */
v_mfma_f32_32x32x16_fp8_fp8 a[16+0:31+0], v[vgprValuB_X0_I0+0+2+0:vgprValuB_X0_I0+0+2+0+1], v[vgprValuA_X0_I0+4+2+0:vgprValuA_X0_I0+4+2+0+1], a[16:31]
/*  mfmaIndex:18  */
/* localReadsVacancy: latencyLeft 6 */
	;; [unrolled: 3-line block ×15, first 2 shown]
v_mfma_f32_32x32x16_fp8_fp8 a[224+0:239+0], v[vgprValuB_X0_I0+28+2+0:vgprValuB_X0_I0+28+2+0+1], v[vgprValuA_X0_I0+0+2+0:vgprValuA_X0_I0+0+2+0+1], a[224:239]
/* numPrefetchIter=0 */
/* dataAtIterA=-1 numReadsIterA=1 skipReadsIterA=1 readsPerIterA=2 */
/* dataAtIterB=-1 numReadsIterB=1 skipReadsIterB=1 readsPerIterB=8 */


/* iter 2 (last unrolled loop) */

/*  grEndMfmaIndex:0, lwStartMfmaIndex:48, lwEndMfmaIndex:48  */
/*  numMfmaForLR:14, barrierMfmaIndex:49, LocalWritePerMfma:0.225 */
/*  mfmaIndex:32  */
/* localReadsVacancy: latencyLeft 6 */
s_waitcnt lgkmcnt(0)                               // lgkmcnt=0 vmcnt=-1wait for prior local read local write old=0, new=0 newLW=0 newLR=0
v_mfma_f32_32x32x16_fp8_fp8 a[0+0:15+0], v[vgprValuB_X2_I0+0+0+0:vgprValuB_X2_I0+0+0+0+1], v[vgprValuA_X2_I0+0+0+0:vgprValuA_X2_I0+0+0+0+1], a[0:15]
/*  mfmaIndex:33  */
/* localReadsVacancy: latencyLeft 6 */
v_mfma_f32_32x32x16_fp8_fp8 a[16+0:31+0], v[vgprValuB_X2_I0+0+0+0:vgprValuB_X2_I0+0+0+0+1], v[vgprValuA_X2_I0+4+0+0:vgprValuA_X2_I0+4+0+0+1], a[16:31]
/*  mfmaIndex:34  */
/* localReadsVacancy: latencyLeft 6 */
	;; [unrolled: 3-line block ×15, first 2 shown]
/* 1 LDS buffer: read-sync-write */
s_waitcnt lgkmcnt(0)                               // 
s_barrier                                          // 
v_mfma_f32_32x32x16_fp8_fp8 a[224+0:239+0], v[vgprValuB_X2_I0+28+0+0:vgprValuB_X2_I0+28+0+0+1], v[vgprValuA_X2_I0+0+0+0:vgprValuA_X2_I0+0+0+0+1], a[224:239]
/* numPrefetchIter=0 */
/* dataAtIterA=0 numReadsIterA=1 skipReadsIterA=0 readsPerIterA=2 */
/* dataAtIterB=0 numReadsIterB=1 skipReadsIterB=0 readsPerIterB=8 */


/* iter 3 (last unrolled loop) */

/*  grEndMfmaIndex:0, lwStartMfmaIndex:48, lwEndMfmaIndex:48  */
/*  numMfmaForLR:14, barrierMfmaIndex:49, LocalWritePerMfma:0.225 */
/*  mfmaIndex:48  */
s_waitcnt lgkmcnt(0)                               // lgkmcnt=0 vmcnt=-1wait for prior local read local write old=0, new=0 newLW=0 newLR=0
v_mfma_f32_32x32x16_fp8_fp8 a[0+0:15+0], v[vgprValuB_X2_I0+0+2+0:vgprValuB_X2_I0+0+2+0+1], v[vgprValuA_X2_I0+0+2+0:vgprValuA_X2_I0+0+2+0+1], a[0:15]
/*  mfmaIndex:49  */
v_mfma_f32_32x32x16_fp8_fp8 a[16+0:31+0], v[vgprValuB_X2_I0+0+2+0:vgprValuB_X2_I0+0+2+0+1], v[vgprValuA_X2_I0+4+2+0:vgprValuA_X2_I0+4+2+0+1], a[16:31]
/*  mfmaIndex:50  */
	;; [unrolled: 2-line block ×15, first 2 shown]
v_mfma_f32_32x32x16_fp8_fp8 a[224+0:239+0], v[vgprValuB_X2_I0+28+2+0:vgprValuB_X2_I0+28+2+0+1], v[vgprValuA_X2_I0+0+2+0:vgprValuA_X2_I0+0+2+0+1], a[224:239]
/* numPrefetchIter=0 */
/* dataAtIterA=0 numReadsIterA=1 skipReadsIterA=0 readsPerIterA=2 */
/* dataAtIterB=0 numReadsIterB=1 skipReadsIterB=0 readsPerIterB=8 */

/* Stores for OptNLL */
Summation_End_OptNLL_18:
/* endSummation: add vgpr [0...116) to pool */
.set NumFullBlocks, UNDEF
.set WgmRemainder1, UNDEF
.set MagicNumberWgmRemainder1, UNDEF
.set ScalarGlobalReadOffsetA, UNDEF
.set ScalarGlobalReadOffsetB, UNDEF

/* Mapping of Acc register -> C Vgpr register */
/* computeStoreVgprs */
v_lshrrev_b32 v4, 6, v[vgprSerial]                 // v4 = v[vgprSerial] / 64
v_and_b32 v1, 63, v[vgprSerial]                    // v1 = v[vgprSerial] % 64
v_lshrrev_b32 v1, 5, v1                            // v1 = v1 / 32
v_lshlrev_b32 v1, 0x2, v1                          // thread0 * continuous_output
v_lshrrev_b32 v5, 2, v4                            // v5 = v4 / 4
v_mul_lo_u32 v5, 0x20, v5                          // wave coordination offset 1
_v_add_lshl_u32 v1, v5, v1, 2                      // coordination 1 = vwb *(wave_id1 + tid1)
v_mul_lo_u32 v2, v1, s[sgprStrideC1J]              //  offset 1
v_mul_lo_u32 v3, v1, s[sgprStrideD1J]              //  offset 1
v_and_b32 v5, 3, v4                                // v5 = v4 % 4
v_mul_lo_u32 v5, 0x20, v5                          // wave coordination offset 0
v_and_b32 v0, 31, v[vgprSerial]                    // v0 = v[vgprSerial] % 32
_v_add_lshl_u32 v0, v5, v0, 1                      // coordination 0 = vwa *(wave_id0 + tid0)
s_mul_i32 s53, 256, s[sgprWorkGroup0]              // wgp0 * MT0
_v_add_u32 v0, s53, v0                             // coord 0 = (tid0/MI_m)*4 + waveG0*MIB_m + MT0*SG0
s_mul_i32 s53, 256, s[sgprWorkGroup1]              // wgp1 * MT1
_v_add_u32 v1, s53, v1                             // coord 1 = (tid0%MI_m) + waveG1*MIB_n + MT1*SG1
GW_B0_E0_21:

/* edge=0, allocate 2 sgpr. perBatchTmpS=2 perBatchMaskS=0 perElementMaskS=0 elementsPerBatch=119 */
/* optSingleColVgpr=1 optSharedColVgpr=0 optSGPRUsage=BufferLoad_Mask optSrdIncForRow=1 */

/******************************************/
/* Global Write Batch #0 (d1,d0,vc1,vc0) = */
/*    (0,0,0,0:vw2); (0,0,1,0:vw2); (0,0,2,0:vw2); (0,0,3,0:vw2); (0,0,4,0:vw2); (0,0,5,0:vw2); (0,0,6,0:vw2); (0,0,7,0:vw2); (0,0,8,0:vw2); (0,0,9,0:vw2); (0,0,10,0:vw2); (0,0,11,0:vw2); (0,0,12,0:vw2); (0,0,13,0:vw2); (0,0,14,0:vw2); (0,0,15,0:vw2); (1,0,0,0:vw2); (1,0,1,0:vw2); (1,0,2,0:vw2); (1,0,3,0:vw2); (1,0,4,0:vw2); (1,0,5,0:vw2); (1,0,6,0:vw2); (1,0,7,0:vw2); (1,0,8,0:vw2); (1,0,9,0:vw2); (1,0,10,0:vw2); (1,0,11,0:vw2); (1,0,12,0:vw2); (1,0,13,0:vw2); (1,0,14,0:vw2); (1,0,15,0:vw2); (2,0,0,0:vw2); (2,0,1,0:vw2); (2,0,2,0:vw2); (2,0,3,0:vw2); (2,0,4,0:vw2); (2,0,5,0:vw2); (2,0,6,0:vw2); (2,0,7,0:vw2); (2,0,8,0:vw2); (2,0,9,0:vw2); (2,0,10,0:vw2); (2,0,11,0:vw2); (2,0,12,0:vw2); (2,0,13,0:vw2); (2,0,14,0:vw2); (2,0,15,0:vw2); (3,0,0,0:vw2); (3,0,1,0:vw2); (3,0,2,0:vw2); (3,0,3,0:vw2); (3,0,4,0:vw2); (3,0,5,0:vw2); (3,0,6,0:vw2); (3,0,7,0:vw2); (3,0,8,0:vw2); (3,0,9,0:vw2); (3,0,10,0:vw2); (3,0,11,0:vw2); (3,0,12,0:vw2); (3,0,13,0:vw2); (3,0,14,0:vw2); (3,0,15,0:vw2); (4,0,0,0:vw2); (4,0,1,0:vw2); (4,0,2,0:vw2); (4,0,3,0:vw2); (4,0,4,0:vw2); (4,0,5,0:vw2); (4,0,6,0:vw2); (4,0,7,0:vw2); (4,0,8,0:vw2); (4,0,9,0:vw2); (4,0,10,0:vw2); (4,0,11,0:vw2); (4,0,12,0:vw2); (4,0,13,0:vw2); (4,0,14,0:vw2); (4,0,15,0:vw2); (5,0,0,0:vw2); (5,0,1,0:vw2); (5,0,2,0:vw2); (5,0,3,0:vw2); (5,0,4,0:vw2); (5,0,5,0:vw2); (5,0,6,0:vw2); (5,0,7,0:vw2); (5,0,8,0:vw2); (5,0,9,0:vw2); (5,0,10,0:vw2); (5,0,11,0:vw2); (5,0,12,0:vw2); (5,0,13,0:vw2); (5,0,14,0:vw2); (5,0,15,0:vw2); (6,0,0,0:vw2); (6,0,1,0:vw2); (6,0,2,0:vw2); (6,0,3,0:vw2); (6,0,4,0:vw2); (6,0,5,0:vw2); (6,0,6,0:vw2); (6,0,7,0:vw2); (6,0,8,0:vw2); (6,0,9,0:vw2); (6,0,10,0:vw2); (6,0,11,0:vw2); (6,0,12,0:vw2); (6,0,13,0:vw2); (6,0,14,0:vw2); (6,0,15,0:vw2); (7,0,0,0:vw2); (7,0,1,0:vw2); (7,0,2,0:vw2); (7,0,3,0:vw2); (7,0,4,0:vw2); (7,0,5,0:vw2); (7,0,6,0:vw2) */
/******************************************/

/* calc coords, apply mask, and issue loads (if necessary) */
/* (d1,vc1,d0,vc0)=(0,0,0,0) */
/* (d1,vc1,d0,vc0)=(0,1,0,0) */
	;; [unrolled: 1-line block ×119, first 2 shown]
_v_add_lshl_u32 v11, v3, v0, 0x0                   // optSingleColVgpr scaleToBpe: sharedAddrVgpr <- cinRowPtr + coord0, scaled by BPE. BSHERE:coord0=0, coord0Vgpr=0
v_accvgpr_read_b32 v[vgprValuC+14], acc0 // copy acc to vreg[0]
v_accvgpr_read_b32 v[vgprValuC+15], acc16 // copy acc to vreg[1]
v_accvgpr_read_b32 v[vgprValuC+16], acc32 // copy acc to vreg[2]
v_accvgpr_read_b32 v[vgprValuC+17], acc48 // copy acc to vreg[3]
v_accvgpr_read_b32 v[vgprValuC+18], acc64 // copy acc to vreg[4]
v_accvgpr_read_b32 v[vgprValuC+19], acc80 // copy acc to vreg[5]
v_accvgpr_read_b32 v[vgprValuC+20], acc96 // copy acc to vreg[6]
v_accvgpr_read_b32 v[vgprValuC+21], acc112 // copy acc to vreg[7]
v_accvgpr_read_b32 v[vgprValuC+22], acc1 // copy acc to vreg[8]
v_accvgpr_read_b32 v[vgprValuC+23], acc17 // copy acc to vreg[9]
v_accvgpr_read_b32 v[vgprValuC+24], acc33 // copy acc to vreg[10]
v_accvgpr_read_b32 v[vgprValuC+25], acc49 // copy acc to vreg[11]
v_accvgpr_read_b32 v[vgprValuC+26], acc65 // copy acc to vreg[12]
v_accvgpr_read_b32 v[vgprValuC+27], acc81 // copy acc to vreg[13]
v_accvgpr_read_b32 v[vgprValuC+28], acc97 // copy acc to vreg[14]
v_accvgpr_read_b32 v[vgprValuC+29], acc113 // copy acc to vreg[15]
v_accvgpr_read_b32 v[vgprValuC+30], acc2 // copy acc to vreg[16]
v_accvgpr_read_b32 v[vgprValuC+31], acc18 // copy acc to vreg[17]
v_accvgpr_read_b32 v[vgprValuC+32], acc34 // copy acc to vreg[18]
v_accvgpr_read_b32 v[vgprValuC+33], acc50 // copy acc to vreg[19]
v_accvgpr_read_b32 v[vgprValuC+34], acc66 // copy acc to vreg[20]
v_accvgpr_read_b32 v[vgprValuC+35], acc82 // copy acc to vreg[21]
v_accvgpr_read_b32 v[vgprValuC+36], acc98 // copy acc to vreg[22]
v_accvgpr_read_b32 v[vgprValuC+37], acc114 // copy acc to vreg[23]
v_accvgpr_read_b32 v[vgprValuC+38], acc3 // copy acc to vreg[24]
v_accvgpr_read_b32 v[vgprValuC+39], acc19 // copy acc to vreg[25]
v_accvgpr_read_b32 v[vgprValuC+40], acc35 // copy acc to vreg[26]
v_accvgpr_read_b32 v[vgprValuC+41], acc51 // copy acc to vreg[27]
v_accvgpr_read_b32 v[vgprValuC+42], acc67 // copy acc to vreg[28]
v_accvgpr_read_b32 v[vgprValuC+43], acc83 // copy acc to vreg[29]
v_accvgpr_read_b32 v[vgprValuC+44], acc99 // copy acc to vreg[30]
v_accvgpr_read_b32 v[vgprValuC+45], acc115 // copy acc to vreg[31]
v_accvgpr_read_b32 v[vgprValuC+46], acc4 // copy acc to vreg[32]
v_accvgpr_read_b32 v[vgprValuC+47], acc20 // copy acc to vreg[33]
v_accvgpr_read_b32 v[vgprValuC+48], acc36 // copy acc to vreg[34]
v_accvgpr_read_b32 v[vgprValuC+49], acc52 // copy acc to vreg[35]
v_accvgpr_read_b32 v[vgprValuC+50], acc68 // copy acc to vreg[36]
v_accvgpr_read_b32 v[vgprValuC+51], acc84 // copy acc to vreg[37]
v_accvgpr_read_b32 v[vgprValuC+52], acc100 // copy acc to vreg[38]
v_accvgpr_read_b32 v[vgprValuC+53], acc116 // copy acc to vreg[39]
v_accvgpr_read_b32 v[vgprValuC+54], acc5 // copy acc to vreg[40]
v_accvgpr_read_b32 v[vgprValuC+55], acc21 // copy acc to vreg[41]
v_accvgpr_read_b32 v[vgprValuC+56], acc37 // copy acc to vreg[42]
v_accvgpr_read_b32 v[vgprValuC+57], acc53 // copy acc to vreg[43]
v_accvgpr_read_b32 v[vgprValuC+58], acc69 // copy acc to vreg[44]
v_accvgpr_read_b32 v[vgprValuC+59], acc85 // copy acc to vreg[45]
v_accvgpr_read_b32 v[vgprValuC+60], acc101 // copy acc to vreg[46]
v_accvgpr_read_b32 v[vgprValuC+61], acc117 // copy acc to vreg[47]
v_accvgpr_read_b32 v[vgprValuC+62], acc6 // copy acc to vreg[48]
v_accvgpr_read_b32 v[vgprValuC+63], acc22 // copy acc to vreg[49]
v_accvgpr_read_b32 v[vgprValuC+64], acc38 // copy acc to vreg[50]
v_accvgpr_read_b32 v[vgprValuC+65], acc54 // copy acc to vreg[51]
v_accvgpr_read_b32 v[vgprValuC+66], acc70 // copy acc to vreg[52]
v_accvgpr_read_b32 v[vgprValuC+67], acc86 // copy acc to vreg[53]
v_accvgpr_read_b32 v[vgprValuC+68], acc102 // copy acc to vreg[54]
v_accvgpr_read_b32 v[vgprValuC+69], acc118 // copy acc to vreg[55]
v_accvgpr_read_b32 v[vgprValuC+70], acc7 // copy acc to vreg[56]
v_accvgpr_read_b32 v[vgprValuC+71], acc23 // copy acc to vreg[57]
v_accvgpr_read_b32 v[vgprValuC+72], acc39 // copy acc to vreg[58]
v_accvgpr_read_b32 v[vgprValuC+73], acc55 // copy acc to vreg[59]
v_accvgpr_read_b32 v[vgprValuC+74], acc71 // copy acc to vreg[60]
v_accvgpr_read_b32 v[vgprValuC+75], acc87 // copy acc to vreg[61]
v_accvgpr_read_b32 v[vgprValuC+76], acc103 // copy acc to vreg[62]
v_accvgpr_read_b32 v[vgprValuC+77], acc119 // copy acc to vreg[63]
v_accvgpr_read_b32 v[vgprValuC+78], acc8 // copy acc to vreg[64]
v_accvgpr_read_b32 v[vgprValuC+79], acc24 // copy acc to vreg[65]
v_accvgpr_read_b32 v[vgprValuC+80], acc40 // copy acc to vreg[66]
v_accvgpr_read_b32 v[vgprValuC+81], acc56 // copy acc to vreg[67]
v_accvgpr_read_b32 v[vgprValuC+82], acc72 // copy acc to vreg[68]
v_accvgpr_read_b32 v[vgprValuC+83], acc88 // copy acc to vreg[69]
v_accvgpr_read_b32 v[vgprValuC+84], acc104 // copy acc to vreg[70]
v_accvgpr_read_b32 v[vgprValuC+85], acc120 // copy acc to vreg[71]
v_accvgpr_read_b32 v[vgprValuC+86], acc9 // copy acc to vreg[72]
v_accvgpr_read_b32 v[vgprValuC+87], acc25 // copy acc to vreg[73]
v_accvgpr_read_b32 v[vgprValuC+88], acc41 // copy acc to vreg[74]
v_accvgpr_read_b32 v[vgprValuC+89], acc57 // copy acc to vreg[75]
v_accvgpr_read_b32 v[vgprValuC+90], acc73 // copy acc to vreg[76]
v_accvgpr_read_b32 v[vgprValuC+91], acc89 // copy acc to vreg[77]
v_accvgpr_read_b32 v[vgprValuC+92], acc105 // copy acc to vreg[78]
v_accvgpr_read_b32 v[vgprValuC+93], acc121 // copy acc to vreg[79]
v_accvgpr_read_b32 v[vgprValuC+94], acc10 // copy acc to vreg[80]
v_accvgpr_read_b32 v[vgprValuC+95], acc26 // copy acc to vreg[81]
v_accvgpr_read_b32 v[vgprValuC+96], acc42 // copy acc to vreg[82]
v_accvgpr_read_b32 v[vgprValuC+97], acc58 // copy acc to vreg[83]
v_accvgpr_read_b32 v[vgprValuC+98], acc74 // copy acc to vreg[84]
v_accvgpr_read_b32 v[vgprValuC+99], acc90 // copy acc to vreg[85]
v_accvgpr_read_b32 v[vgprValuC+100], acc106 // copy acc to vreg[86]
v_accvgpr_read_b32 v[vgprValuC+101], acc122 // copy acc to vreg[87]
v_accvgpr_read_b32 v[vgprValuC+102], acc11 // copy acc to vreg[88]
v_accvgpr_read_b32 v[vgprValuC+103], acc27 // copy acc to vreg[89]
v_accvgpr_read_b32 v[vgprValuC+104], acc43 // copy acc to vreg[90]
v_accvgpr_read_b32 v[vgprValuC+105], acc59 // copy acc to vreg[91]
v_accvgpr_read_b32 v[vgprValuC+106], acc75 // copy acc to vreg[92]
v_accvgpr_read_b32 v[vgprValuC+107], acc91 // copy acc to vreg[93]
v_accvgpr_read_b32 v[vgprValuC+108], acc107 // copy acc to vreg[94]
v_accvgpr_read_b32 v[vgprValuC+109], acc123 // copy acc to vreg[95]
v_accvgpr_read_b32 v[vgprValuC+110], acc12 // copy acc to vreg[96]
v_accvgpr_read_b32 v[vgprValuC+111], acc28 // copy acc to vreg[97]
v_accvgpr_read_b32 v[vgprValuC+112], acc44 // copy acc to vreg[98]
v_accvgpr_read_b32 v[vgprValuC+113], acc60 // copy acc to vreg[99]
v_accvgpr_read_b32 v[vgprValuC+114], acc76 // copy acc to vreg[100]
v_accvgpr_read_b32 v[vgprValuC+115], acc92 // copy acc to vreg[101]
v_accvgpr_read_b32 v[vgprValuC+120], acc108 // copy acc to vreg[102]
v_accvgpr_read_b32 v[vgprValuC+121], acc124 // copy acc to vreg[103]
v_accvgpr_read_b32 v[vgprValuC+122], acc13 // copy acc to vreg[104]
v_accvgpr_read_b32 v[vgprValuC+123], acc29 // copy acc to vreg[105]
v_accvgpr_read_b32 v[vgprValuC+124], acc45 // copy acc to vreg[106]
v_accvgpr_read_b32 v[vgprValuC+125], acc61 // copy acc to vreg[107]
v_accvgpr_read_b32 v[vgprValuC+126], acc77 // copy acc to vreg[108]
v_accvgpr_read_b32 v[vgprValuC+127], acc93 // copy acc to vreg[109]
v_accvgpr_read_b32 v[vgprValuC+128], acc109 // copy acc to vreg[110]
v_accvgpr_read_b32 v[vgprValuC+129], acc125 // copy acc to vreg[111]
v_accvgpr_read_b32 v[vgprValuC+130], acc14 // copy acc to vreg[112]
v_accvgpr_read_b32 v[vgprValuC+131], acc30 // copy acc to vreg[113]
v_accvgpr_read_b32 v[vgprValuC+132], acc46 // copy acc to vreg[114]
v_accvgpr_read_b32 v[vgprValuC+133], acc62 // copy acc to vreg[115]
v_accvgpr_read_b32 v[vgprValuC+134], acc78 // copy acc to vreg[116]
v_accvgpr_read_b32 v[vgprValuC+135], acc94 // copy acc to vreg[117]
v_accvgpr_read_b32 v[vgprValuC+136], acc110 // copy acc to vreg[118]
v_accvgpr_read_b32 v[vgprValuC+137], acc126 // copy acc to vreg[119]
v_accvgpr_read_b32 v[vgprValuC+138], acc15 // copy acc to vreg[120]
v_accvgpr_read_b32 v[vgprValuC+139], acc31 // copy acc to vreg[121]
v_accvgpr_read_b32 v[vgprValuC+140], acc47 // copy acc to vreg[122]
v_accvgpr_read_b32 v[vgprValuC+141], acc63 // copy acc to vreg[123]
v_accvgpr_read_b32 v[vgprValuC+142], acc79 // copy acc to vreg[124]
v_accvgpr_read_b32 v[vgprValuC+143], acc95 // copy acc to vreg[125]
v_accvgpr_read_b32 v[vgprValuC+144], acc111 // copy acc to vreg[126]
v_accvgpr_read_b32 v[vgprValuC+145], acc127 // copy acc to vreg[127]
v_accvgpr_read_b32 v[vgprValuC+146], acc128 // copy acc to vreg[128]
v_accvgpr_read_b32 v[vgprValuC+147], acc144 // copy acc to vreg[129]
v_accvgpr_read_b32 v[vgprValuC+148], acc160 // copy acc to vreg[130]
v_accvgpr_read_b32 v[vgprValuC+149], acc176 // copy acc to vreg[131]
v_accvgpr_read_b32 v[vgprValuC+150], acc192 // copy acc to vreg[132]
v_accvgpr_read_b32 v[vgprValuC+151], acc208 // copy acc to vreg[133]
v_accvgpr_read_b32 v[vgprValuC+152], acc224 // copy acc to vreg[134]
v_accvgpr_read_b32 v[vgprValuC+153], acc240 // copy acc to vreg[135]
v_accvgpr_read_b32 v[vgprValuC+154], acc129 // copy acc to vreg[136]
v_accvgpr_read_b32 v[vgprValuC+155], acc145 // copy acc to vreg[137]
v_accvgpr_read_b32 v[vgprValuC+156], acc161 // copy acc to vreg[138]
v_accvgpr_read_b32 v[vgprValuC+157], acc177 // copy acc to vreg[139]
v_accvgpr_read_b32 v[vgprValuC+158], acc193 // copy acc to vreg[140]
v_accvgpr_read_b32 v[vgprValuC+159], acc209 // copy acc to vreg[141]
v_accvgpr_read_b32 v[vgprValuC+160], acc225 // copy acc to vreg[142]
v_accvgpr_read_b32 v[vgprValuC+161], acc241 // copy acc to vreg[143]
v_accvgpr_read_b32 v[vgprValuC+162], acc130 // copy acc to vreg[144]
v_accvgpr_read_b32 v[vgprValuC+163], acc146 // copy acc to vreg[145]
v_accvgpr_read_b32 v[vgprValuC+164], acc162 // copy acc to vreg[146]
v_accvgpr_read_b32 v[vgprValuC+165], acc178 // copy acc to vreg[147]
v_accvgpr_read_b32 v[vgprValuC+166], acc194 // copy acc to vreg[148]
v_accvgpr_read_b32 v[vgprValuC+167], acc210 // copy acc to vreg[149]
v_accvgpr_read_b32 v[vgprValuC+168], acc226 // copy acc to vreg[150]
v_accvgpr_read_b32 v[vgprValuC+169], acc242 // copy acc to vreg[151]
v_accvgpr_read_b32 v[vgprValuC+170], acc131 // copy acc to vreg[152]
v_accvgpr_read_b32 v[vgprValuC+171], acc147 // copy acc to vreg[153]
v_accvgpr_read_b32 v[vgprValuC+172], acc163 // copy acc to vreg[154]
v_accvgpr_read_b32 v[vgprValuC+173], acc179 // copy acc to vreg[155]
v_accvgpr_read_b32 v[vgprValuC+174], acc195 // copy acc to vreg[156]
v_accvgpr_read_b32 v[vgprValuC+175], acc211 // copy acc to vreg[157]
v_accvgpr_read_b32 v[vgprValuC+176], acc227 // copy acc to vreg[158]
v_accvgpr_read_b32 v[vgprValuC+177], acc243 // copy acc to vreg[159]
v_accvgpr_read_b32 v[vgprValuC+178], acc132 // copy acc to vreg[160]
v_accvgpr_read_b32 v[vgprValuC+179], acc148 // copy acc to vreg[161]
v_accvgpr_read_b32 v[vgprValuC+180], acc164 // copy acc to vreg[162]
v_accvgpr_read_b32 v[vgprValuC+181], acc180 // copy acc to vreg[163]
v_accvgpr_read_b32 v[vgprValuC+182], acc196 // copy acc to vreg[164]
v_accvgpr_read_b32 v[vgprValuC+183], acc212 // copy acc to vreg[165]
v_accvgpr_read_b32 v[vgprValuC+184], acc228 // copy acc to vreg[166]
v_accvgpr_read_b32 v[vgprValuC+185], acc244 // copy acc to vreg[167]
v_accvgpr_read_b32 v[vgprValuC+186], acc133 // copy acc to vreg[168]
v_accvgpr_read_b32 v[vgprValuC+187], acc149 // copy acc to vreg[169]
v_accvgpr_read_b32 v[vgprValuC+188], acc165 // copy acc to vreg[170]
v_accvgpr_read_b32 v[vgprValuC+189], acc181 // copy acc to vreg[171]
v_accvgpr_read_b32 v[vgprValuC+190], acc197 // copy acc to vreg[172]
v_accvgpr_read_b32 v[vgprValuC+191], acc213 // copy acc to vreg[173]
v_accvgpr_read_b32 v[vgprValuC+192], acc229 // copy acc to vreg[174]
v_accvgpr_read_b32 v[vgprValuC+193], acc245 // copy acc to vreg[175]
v_accvgpr_read_b32 v[vgprValuC+194], acc134 // copy acc to vreg[176]
v_accvgpr_read_b32 v[vgprValuC+195], acc150 // copy acc to vreg[177]
v_accvgpr_read_b32 v[vgprValuC+196], acc166 // copy acc to vreg[178]
v_accvgpr_read_b32 v[vgprValuC+197], acc182 // copy acc to vreg[179]
v_accvgpr_read_b32 v[vgprValuC+198], acc198 // copy acc to vreg[180]
v_accvgpr_read_b32 v[vgprValuC+199], acc214 // copy acc to vreg[181]
v_accvgpr_read_b32 v[vgprValuC+200], acc230 // copy acc to vreg[182]
v_accvgpr_read_b32 v[vgprValuC+201], acc246 // copy acc to vreg[183]
v_accvgpr_read_b32 v[vgprValuC+202], acc135 // copy acc to vreg[184]
v_accvgpr_read_b32 v[vgprValuC+203], acc151 // copy acc to vreg[185]
v_accvgpr_read_b32 v[vgprValuC+204], acc167 // copy acc to vreg[186]
v_accvgpr_read_b32 v[vgprValuC+205], acc183 // copy acc to vreg[187]
v_accvgpr_read_b32 v[vgprValuC+206], acc199 // copy acc to vreg[188]
v_accvgpr_read_b32 v[vgprValuC+207], acc215 // copy acc to vreg[189]
v_accvgpr_read_b32 v[vgprValuC+208], acc231 // copy acc to vreg[190]
v_accvgpr_read_b32 v[vgprValuC+209], acc247 // copy acc to vreg[191]
v_accvgpr_read_b32 v[vgprValuC+210], acc136 // copy acc to vreg[192]
v_accvgpr_read_b32 v[vgprValuC+211], acc152 // copy acc to vreg[193]
v_accvgpr_read_b32 v[vgprValuC+212], acc168 // copy acc to vreg[194]
v_accvgpr_read_b32 v[vgprValuC+213], acc184 // copy acc to vreg[195]
v_accvgpr_read_b32 v[vgprValuC+214], acc200 // copy acc to vreg[196]
v_accvgpr_read_b32 v[vgprValuC+215], acc216 // copy acc to vreg[197]
v_accvgpr_read_b32 v[vgprValuC+216], acc232 // copy acc to vreg[198]
v_accvgpr_read_b32 v[vgprValuC+217], acc248 // copy acc to vreg[199]
v_accvgpr_read_b32 v[vgprValuC+218], acc137 // copy acc to vreg[200]
v_accvgpr_read_b32 v[vgprValuC+219], acc153 // copy acc to vreg[201]
v_accvgpr_read_b32 v[vgprValuC+220], acc169 // copy acc to vreg[202]
v_accvgpr_read_b32 v[vgprValuC+221], acc185 // copy acc to vreg[203]
v_accvgpr_read_b32 v[vgprValuC+222], acc201 // copy acc to vreg[204]
v_accvgpr_read_b32 v[vgprValuC+223], acc217 // copy acc to vreg[205]
v_accvgpr_read_b32 v[vgprValuC+224], acc233 // copy acc to vreg[206]
v_accvgpr_read_b32 v[vgprValuC+225], acc249 // copy acc to vreg[207]
v_accvgpr_read_b32 v[vgprValuC+226], acc138 // copy acc to vreg[208]
v_accvgpr_read_b32 v[vgprValuC+227], acc154 // copy acc to vreg[209]
v_accvgpr_read_b32 v[vgprValuC+228], acc170 // copy acc to vreg[210]
v_accvgpr_read_b32 v[vgprValuC+229], acc186 // copy acc to vreg[211]
v_accvgpr_read_b32 v[vgprValuC+230], acc202 // copy acc to vreg[212]
v_accvgpr_read_b32 v[vgprValuC+231], acc218 // copy acc to vreg[213]
v_accvgpr_read_b32 v[vgprValuC+232], acc234 // copy acc to vreg[214]
v_accvgpr_read_b32 v[vgprValuC+233], acc250 // copy acc to vreg[215]
v_accvgpr_read_b32 v[vgprValuC+234], acc139 // copy acc to vreg[216]
v_accvgpr_read_b32 v[vgprValuC+235], acc155 // copy acc to vreg[217]
v_accvgpr_read_b32 v[vgprValuC+236], acc171 // copy acc to vreg[218]
v_accvgpr_read_b32 v[vgprValuC+237], acc187 // copy acc to vreg[219]
v_accvgpr_read_b32 v[vgprValuC+238], acc203 // copy acc to vreg[220]
v_accvgpr_read_b32 v[vgprValuC+239], acc219 // copy acc to vreg[221]
v_accvgpr_read_b32 v[vgprValuC+240], acc235 // copy acc to vreg[222]
v_accvgpr_read_b32 v[vgprValuC+241], acc251 // copy acc to vreg[223]
v_accvgpr_read_b32 v[vgprValuC+242], acc140 // copy acc to vreg[224]
v_accvgpr_read_b32 v[vgprValuC+243], acc156 // copy acc to vreg[225]
v_accvgpr_read_b32 v[vgprValuC+244], acc172 // copy acc to vreg[226]
v_accvgpr_read_b32 v[vgprValuC+245], acc188 // copy acc to vreg[227]
v_accvgpr_read_b32 v[vgprValuC+246], acc204 // copy acc to vreg[228]
v_accvgpr_read_b32 v[vgprValuC+247], acc220 // copy acc to vreg[229]
v_accvgpr_read_b32 v[vgprValuC+248], acc236 // copy acc to vreg[230]
v_accvgpr_read_b32 v[vgprValuC+249], acc252 // copy acc to vreg[231]
v_accvgpr_read_b32 v[vgprValuC+250], acc141 // copy acc to vreg[232]
v_accvgpr_read_b32 v[vgprValuC+251], acc157 // copy acc to vreg[233]
v_accvgpr_read_b32 v[vgprValuC+252], acc173 // copy acc to vreg[234]
v_accvgpr_read_b32 v[vgprValuC+253], acc189 // copy acc to vreg[235]
v_accvgpr_read_b32 v[vgprValuC+254], acc205 // copy acc to vreg[236]
v_accvgpr_read_b32 v[vgprValuC+255], acc221 // copy acc to vreg[237]
s_nop 1                                            // 2 wait states required before reading vgpr

/* apply mask, calc new C and issue writes */
v_mov_b32 v10, 0x207                               // flag for Nan and +/- inf
v_mov_b32 v8, 0x43700000                           // save 240.0f as max for clipping
v_mov_b32 v9, 0xC3700000                           // save -240.0f as min for clipping
v_cmp_class_f32 s[54:55], v[vgprValuC+14], v10     // check NaN and +/-INF
v_med3_f32 v6, v[vgprValuC+14], v8, v9             // Clipping f32 value if exceeds the limit
v_cndmask_b32 v6, v6, v[vgprValuC+14], s[54:55]    // 
v_cmp_class_f32 s[54:55], v[vgprValuC+15], v10     // check NaN and +/-INF
v_med3_f32 v7, v[vgprValuC+15], v8, v9             // Clipping f32 value if exceeds the limit
v_cndmask_b32 v7, v7, v[vgprValuC+15], s[54:55]    // 
v_cvt_pk_fp8_f32  v14, v6, v7 op_sel:[0,0,0]       // convert two f32 accumulated values to fp8 and save it to lo_16[0:15]
_buffer_store_b16 v14, v11, s[sgprSrdD:sgprSrdD+3], 0, offen, offset:0 // store D
v_cmp_class_f32 s[54:55], v[vgprValuC+16], v10     // check NaN and +/-INF
v_med3_f32 v6, v[vgprValuC+16], v8, v9             // Clipping f32 value if exceeds the limit
v_cndmask_b32 v6, v6, v[vgprValuC+16], s[54:55]    // 
v_cmp_class_f32 s[54:55], v[vgprValuC+17], v10     // check NaN and +/-INF
v_med3_f32 v7, v[vgprValuC+17], v8, v9             // Clipping f32 value if exceeds the limit
v_cndmask_b32 v7, v7, v[vgprValuC+17], s[54:55]    // 
v_cvt_pk_fp8_f32  v16, v6, v7 op_sel:[0,0,0]       // convert two f32 accumulated values to fp8 and save it to lo_16[0:15]
s_lshl_b32  s54, s[sgprStrideD1J], 0               // incToNextRow: Scale by BPE
s_add_u32  s[sgprSrdD+0], s[sgprSrdD+0], s54       // incToNextRow: gra SRD += inc(lower)
s_addc_u32  s[sgprSrdD+1], s[sgprSrdD+1], 0        // incToNextRow: gra SRD += inc(upper)
_buffer_store_b16 v16, v11, s[sgprSrdD:sgprSrdD+3], 0, offen, offset:0 // store D
v_cmp_class_f32 s[54:55], v[vgprValuC+18], v10     // check NaN and +/-INF
v_med3_f32 v6, v[vgprValuC+18], v8, v9             // Clipping f32 value if exceeds the limit
v_cndmask_b32 v6, v6, v[vgprValuC+18], s[54:55]    // 
v_cmp_class_f32 s[54:55], v[vgprValuC+19], v10     // check NaN and +/-INF
v_med3_f32 v7, v[vgprValuC+19], v8, v9             // Clipping f32 value if exceeds the limit
v_cndmask_b32 v7, v7, v[vgprValuC+19], s[54:55]    // 
v_cvt_pk_fp8_f32  v18, v6, v7 op_sel:[0,0,0]       // convert two f32 accumulated values to fp8 and save it to lo_16[0:15]
s_lshl_b32  s54, s[sgprStrideD1J], 0               // incToNextRow: Scale by BPE
s_add_u32  s[sgprSrdD+0], s[sgprSrdD+0], s54       // incToNextRow: gra SRD += inc(lower)
s_addc_u32  s[sgprSrdD+1], s[sgprSrdD+1], 0        // incToNextRow: gra SRD += inc(upper)
	;; [unrolled: 11-line block ×15, first 2 shown]
_buffer_store_b16 v44, v11, s[sgprSrdD:sgprSrdD+3], 0, offen, offset:0 // store D
v_cmp_class_f32 s[54:55], v[vgprValuC+46], v10     // check NaN and +/-INF
v_med3_f32 v6, v[vgprValuC+46], v8, v9             // Clipping f32 value if exceeds the limit
v_cndmask_b32 v6, v6, v[vgprValuC+46], s[54:55]    // 
v_cmp_class_f32 s[54:55], v[vgprValuC+47], v10     // check NaN and +/-INF
v_med3_f32 v7, v[vgprValuC+47], v8, v9             // Clipping f32 value if exceeds the limit
v_cndmask_b32 v7, v7, v[vgprValuC+47], s[54:55]    // 
v_cvt_pk_fp8_f32  v46, v6, v7 op_sel:[0,0,0]       // convert two f32 accumulated values to fp8 and save it to lo_16[0:15]
s_mul_i32 s54, s[sgprStrideD1J], 17                // scale StrideD *= numRows(17) * bpe
s_add_u32  s[sgprSrdD+0], s[sgprSrdD+0], s54       // incToNextRow: gra SRD += inc(lower)
s_addc_u32  s[sgprSrdD+1], s[sgprSrdD+1], 0        // incToNextRow: gra SRD += inc(upper)
_buffer_store_b16 v46, v11, s[sgprSrdD:sgprSrdD+3], 0, offen, offset:0 // store D
v_cmp_class_f32 s[54:55], v[vgprValuC+48], v10     // check NaN and +/-INF
v_med3_f32 v6, v[vgprValuC+48], v8, v9             // Clipping f32 value if exceeds the limit
v_cndmask_b32 v6, v6, v[vgprValuC+48], s[54:55]    // 
v_cmp_class_f32 s[54:55], v[vgprValuC+49], v10     // check NaN and +/-INF
v_med3_f32 v7, v[vgprValuC+49], v8, v9             // Clipping f32 value if exceeds the limit
v_cndmask_b32 v7, v7, v[vgprValuC+49], s[54:55]    // 
v_cvt_pk_fp8_f32  v48, v6, v7 op_sel:[0,0,0]       // convert two f32 accumulated values to fp8 and save it to lo_16[0:15]
s_lshl_b32  s54, s[sgprStrideD1J], 0               // incToNextRow: Scale by BPE
s_add_u32  s[sgprSrdD+0], s[sgprSrdD+0], s54       // incToNextRow: gra SRD += inc(lower)
s_addc_u32  s[sgprSrdD+1], s[sgprSrdD+1], 0        // incToNextRow: gra SRD += inc(upper)
_buffer_store_b16 v48, v11, s[sgprSrdD:sgprSrdD+3], 0, offen, offset:0 // store D
v_cmp_class_f32 s[54:55], v[vgprValuC+50], v10     // check NaN and +/-INF
v_med3_f32 v6, v[vgprValuC+50], v8, v9             // Clipping f32 value if exceeds the limit
v_cndmask_b32 v6, v6, v[vgprValuC+50], s[54:55]    // 
v_cmp_class_f32 s[54:55], v[vgprValuC+51], v10     // check NaN and +/-INF
v_med3_f32 v7, v[vgprValuC+51], v8, v9             // Clipping f32 value if exceeds the limit
v_cndmask_b32 v7, v7, v[vgprValuC+51], s[54:55]    // 
v_cvt_pk_fp8_f32  v50, v6, v7 op_sel:[0,0,0]       // convert two f32 accumulated values to fp8 and save it to lo_16[0:15]
s_lshl_b32  s54, s[sgprStrideD1J], 0               // incToNextRow: Scale by BPE
	;; [unrolled: 11-line block ×15, first 2 shown]
s_add_u32  s[sgprSrdD+0], s[sgprSrdD+0], s54       // incToNextRow: gra SRD += inc(lower)
s_addc_u32  s[sgprSrdD+1], s[sgprSrdD+1], 0        // incToNextRow: gra SRD += inc(upper)
_buffer_store_b16 v76, v11, s[sgprSrdD:sgprSrdD+3], 0, offen, offset:0 // store D
v_cmp_class_f32 s[54:55], v[vgprValuC+78], v10     // check NaN and +/-INF
v_med3_f32 v6, v[vgprValuC+78], v8, v9             // Clipping f32 value if exceeds the limit
v_cndmask_b32 v6, v6, v[vgprValuC+78], s[54:55]    // 
v_cmp_class_f32 s[54:55], v[vgprValuC+79], v10     // check NaN and +/-INF
v_med3_f32 v7, v[vgprValuC+79], v8, v9             // Clipping f32 value if exceeds the limit
v_cndmask_b32 v7, v7, v[vgprValuC+79], s[54:55]    // 
v_cvt_pk_fp8_f32  v78, v6, v7 op_sel:[0,0,0]       // convert two f32 accumulated values to fp8 and save it to lo_16[0:15]
s_mul_i32 s54, s[sgprStrideD1J], 17                // scale StrideD *= numRows(17) * bpe
s_add_u32  s[sgprSrdD+0], s[sgprSrdD+0], s54       // incToNextRow: gra SRD += inc(lower)
s_addc_u32  s[sgprSrdD+1], s[sgprSrdD+1], 0        // incToNextRow: gra SRD += inc(upper)
_buffer_store_b16 v78, v11, s[sgprSrdD:sgprSrdD+3], 0, offen, offset:0 // store D
v_cmp_class_f32 s[54:55], v[vgprValuC+80], v10     // check NaN and +/-INF
v_med3_f32 v6, v[vgprValuC+80], v8, v9             // Clipping f32 value if exceeds the limit
v_cndmask_b32 v6, v6, v[vgprValuC+80], s[54:55]    // 
v_cmp_class_f32 s[54:55], v[vgprValuC+81], v10     // check NaN and +/-INF
v_med3_f32 v7, v[vgprValuC+81], v8, v9             // Clipping f32 value if exceeds the limit
v_cndmask_b32 v7, v7, v[vgprValuC+81], s[54:55]    // 
v_cvt_pk_fp8_f32  v80, v6, v7 op_sel:[0,0,0]       // convert two f32 accumulated values to fp8 and save it to lo_16[0:15]
s_lshl_b32  s54, s[sgprStrideD1J], 0               // incToNextRow: Scale by BPE
s_add_u32  s[sgprSrdD+0], s[sgprSrdD+0], s54       // incToNextRow: gra SRD += inc(lower)
s_addc_u32  s[sgprSrdD+1], s[sgprSrdD+1], 0        // incToNextRow: gra SRD += inc(upper)
_buffer_store_b16 v80, v11, s[sgprSrdD:sgprSrdD+3], 0, offen, offset:0 // store D
v_cmp_class_f32 s[54:55], v[vgprValuC+82], v10     // check NaN and +/-INF
v_med3_f32 v6, v[vgprValuC+82], v8, v9             // Clipping f32 value if exceeds the limit
v_cndmask_b32 v6, v6, v[vgprValuC+82], s[54:55]    // 
v_cmp_class_f32 s[54:55], v[vgprValuC+83], v10     // check NaN and +/-INF
v_med3_f32 v7, v[vgprValuC+83], v8, v9             // Clipping f32 value if exceeds the limit
v_cndmask_b32 v7, v7, v[vgprValuC+83], s[54:55]    // 
v_cvt_pk_fp8_f32  v82, v6, v7 op_sel:[0,0,0]       // convert two f32 accumulated values to fp8 and save it to lo_16[0:15]
s_lshl_b32  s54, s[sgprStrideD1J], 0               // incToNextRow: Scale by BPE
	;; [unrolled: 11-line block ×10, first 2 shown]
s_add_u32  s[sgprSrdD+0], s[sgprSrdD+0], s54       // incToNextRow: gra SRD += inc(lower)
s_addc_u32  s[sgprSrdD+1], s[sgprSrdD+1], 0        // incToNextRow: gra SRD += inc(upper)
_buffer_store_b16 v98, v11, s[sgprSrdD:sgprSrdD+3], 0, offen, offset:0 // store D
v_cmp_class_f32 s[54:55], v[vgprValuC+100], v10    // check NaN and +/-INF
v_med3_f32 v6, v[vgprValuC+100], v8, v9            // Clipping f32 value if exceeds the limit
v_cndmask_b32 v6, v6, v[vgprValuC+100], s[54:55]   // 
v_cmp_class_f32 s[54:55], v[vgprValuC+101], v10    // check NaN and +/-INF
v_med3_f32 v7, v[vgprValuC+101], v8, v9            // Clipping f32 value if exceeds the limit
v_cndmask_b32 v7, v7, v[vgprValuC+101], s[54:55]   // 
v_cvt_pk_fp8_f32  v100, v6, v7 op_sel:[0,0,0]      // convert two f32 accumulated values to fp8 and save it to lo_16[0:15]
s_lshl_b32  s54, s[sgprStrideD1J], 0               // incToNextRow: Scale by BPE
s_add_u32  s[sgprSrdD+0], s[sgprSrdD+0], s54       // incToNextRow: gra SRD += inc(lower)
s_addc_u32  s[sgprSrdD+1], s[sgprSrdD+1], 0        // incToNextRow: gra SRD += inc(upper)
_buffer_store_b16 v100, v11, s[sgprSrdD:sgprSrdD+3], 0, offen, offset:0 // store D
v_cmp_class_f32 s[54:55], v[vgprValuC+102], v10    // check NaN and +/-INF
v_med3_f32 v6, v[vgprValuC+102], v8, v9            // Clipping f32 value if exceeds the limit
v_cndmask_b32 v6, v6, v[vgprValuC+102], s[54:55]   // 
v_cmp_class_f32 s[54:55], v[vgprValuC+103], v10    // check NaN and +/-INF
v_med3_f32 v7, v[vgprValuC+103], v8, v9            // Clipping f32 value if exceeds the limit
v_cndmask_b32 v7, v7, v[vgprValuC+103], s[54:55]   // 
v_cvt_pk_fp8_f32  v102, v6, v7 op_sel:[0,0,0]      // convert two f32 accumulated values to fp8 and save it to lo_16[0:15]
s_lshl_b32  s54, s[sgprStrideD1J], 0               // incToNextRow: Scale by BPE
	;; [unrolled: 11-line block ×5, first 2 shown]
s_add_u32  s[sgprSrdD+0], s[sgprSrdD+0], s54       // incToNextRow: gra SRD += inc(lower)
s_addc_u32  s[sgprSrdD+1], s[sgprSrdD+1], 0        // incToNextRow: gra SRD += inc(upper)
_buffer_store_b16 v108, v11, s[sgprSrdD:sgprSrdD+3], 0, offen, offset:0 // store D
v_cmp_class_f32 s[54:55], v[vgprValuC+110], v10    // check NaN and +/-INF
v_med3_f32 v6, v[vgprValuC+110], v8, v9            // Clipping f32 value if exceeds the limit
v_cndmask_b32 v6, v6, v[vgprValuC+110], s[54:55]   // 
v_cmp_class_f32 s[54:55], v[vgprValuC+111], v10    // check NaN and +/-INF
v_med3_f32 v7, v[vgprValuC+111], v8, v9            // Clipping f32 value if exceeds the limit
v_cndmask_b32 v7, v7, v[vgprValuC+111], s[54:55]   // 
v_cvt_pk_fp8_f32  v110, v6, v7 op_sel:[0,0,0]      // convert two f32 accumulated values to fp8 and save it to lo_16[0:15]
s_mul_i32 s54, s[sgprStrideD1J], 17                // scale StrideD *= numRows(17) * bpe
s_add_u32  s[sgprSrdD+0], s[sgprSrdD+0], s54       // incToNextRow: gra SRD += inc(lower)
s_addc_u32  s[sgprSrdD+1], s[sgprSrdD+1], 0        // incToNextRow: gra SRD += inc(upper)
_buffer_store_b16 v110, v11, s[sgprSrdD:sgprSrdD+3], 0, offen, offset:0 // store D
v_cmp_class_f32 s[54:55], v[vgprValuC+112], v10    // check NaN and +/-INF
v_med3_f32 v6, v[vgprValuC+112], v8, v9            // Clipping f32 value if exceeds the limit
v_cndmask_b32 v6, v6, v[vgprValuC+112], s[54:55]   // 
v_cmp_class_f32 s[54:55], v[vgprValuC+113], v10    // check NaN and +/-INF
v_med3_f32 v7, v[vgprValuC+113], v8, v9            // Clipping f32 value if exceeds the limit
v_cndmask_b32 v7, v7, v[vgprValuC+113], s[54:55]   // 
v_cvt_pk_fp8_f32  v112, v6, v7 op_sel:[0,0,0]      // convert two f32 accumulated values to fp8 and save it to lo_16[0:15]
s_lshl_b32  s54, s[sgprStrideD1J], 0               // incToNextRow: Scale by BPE
s_add_u32  s[sgprSrdD+0], s[sgprSrdD+0], s54       // incToNextRow: gra SRD += inc(lower)
s_addc_u32  s[sgprSrdD+1], s[sgprSrdD+1], 0        // incToNextRow: gra SRD += inc(upper)
_buffer_store_b16 v112, v11, s[sgprSrdD:sgprSrdD+3], 0, offen, offset:0 // store D
v_cmp_class_f32 s[54:55], v[vgprValuC+114], v10    // check NaN and +/-INF
v_med3_f32 v6, v[vgprValuC+114], v8, v9            // Clipping f32 value if exceeds the limit
v_cndmask_b32 v6, v6, v[vgprValuC+114], s[54:55]   // 
v_cmp_class_f32 s[54:55], v[vgprValuC+115], v10    // check NaN and +/-INF
v_med3_f32 v7, v[vgprValuC+115], v8, v9            // Clipping f32 value if exceeds the limit
v_cndmask_b32 v7, v7, v[vgprValuC+115], s[54:55]   // 
v_cvt_pk_fp8_f32  v114, v6, v7 op_sel:[0,0,0]      // convert two f32 accumulated values to fp8 and save it to lo_16[0:15]
s_lshl_b32  s54, s[sgprStrideD1J], 0               // incToNextRow: Scale by BPE
	;; [unrolled: 11-line block ×15, first 2 shown]
s_add_u32  s[sgprSrdD+0], s[sgprSrdD+0], s54       // incToNextRow: gra SRD += inc(lower)
s_addc_u32  s[sgprSrdD+1], s[sgprSrdD+1], 0        // incToNextRow: gra SRD += inc(upper)
_buffer_store_b16 v144, v11, s[sgprSrdD:sgprSrdD+3], 0, offen, offset:0 // store D
v_cmp_class_f32 s[54:55], v[vgprValuC+146], v10    // check NaN and +/-INF
v_med3_f32 v6, v[vgprValuC+146], v8, v9            // Clipping f32 value if exceeds the limit
v_cndmask_b32 v6, v6, v[vgprValuC+146], s[54:55]   // 
v_cmp_class_f32 s[54:55], v[vgprValuC+147], v10    // check NaN and +/-INF
v_med3_f32 v7, v[vgprValuC+147], v8, v9            // Clipping f32 value if exceeds the limit
v_cndmask_b32 v7, v7, v[vgprValuC+147], s[54:55]   // 
v_cvt_pk_fp8_f32  v146, v6, v7 op_sel:[0,0,0]      // convert two f32 accumulated values to fp8 and save it to lo_16[0:15]
s_mul_i32 s54, s[sgprStrideD1J], 17                // scale StrideD *= numRows(17) * bpe
s_add_u32  s[sgprSrdD+0], s[sgprSrdD+0], s54       // incToNextRow: gra SRD += inc(lower)
s_addc_u32  s[sgprSrdD+1], s[sgprSrdD+1], 0        // incToNextRow: gra SRD += inc(upper)
_buffer_store_b16 v146, v11, s[sgprSrdD:sgprSrdD+3], 0, offen, offset:0 // store D
v_cmp_class_f32 s[54:55], v[vgprValuC+148], v10    // check NaN and +/-INF
v_med3_f32 v6, v[vgprValuC+148], v8, v9            // Clipping f32 value if exceeds the limit
v_cndmask_b32 v6, v6, v[vgprValuC+148], s[54:55]   // 
v_cmp_class_f32 s[54:55], v[vgprValuC+149], v10    // check NaN and +/-INF
v_med3_f32 v7, v[vgprValuC+149], v8, v9            // Clipping f32 value if exceeds the limit
v_cndmask_b32 v7, v7, v[vgprValuC+149], s[54:55]   // 
v_cvt_pk_fp8_f32  v148, v6, v7 op_sel:[0,0,0]      // convert two f32 accumulated values to fp8 and save it to lo_16[0:15]
s_lshl_b32  s54, s[sgprStrideD1J], 0               // incToNextRow: Scale by BPE
s_add_u32  s[sgprSrdD+0], s[sgprSrdD+0], s54       // incToNextRow: gra SRD += inc(lower)
s_addc_u32  s[sgprSrdD+1], s[sgprSrdD+1], 0        // incToNextRow: gra SRD += inc(upper)
_buffer_store_b16 v148, v11, s[sgprSrdD:sgprSrdD+3], 0, offen, offset:0 // store D
v_cmp_class_f32 s[54:55], v[vgprValuC+150], v10    // check NaN and +/-INF
v_med3_f32 v6, v[vgprValuC+150], v8, v9            // Clipping f32 value if exceeds the limit
v_cndmask_b32 v6, v6, v[vgprValuC+150], s[54:55]   // 
v_cmp_class_f32 s[54:55], v[vgprValuC+151], v10    // check NaN and +/-INF
v_med3_f32 v7, v[vgprValuC+151], v8, v9            // Clipping f32 value if exceeds the limit
v_cndmask_b32 v7, v7, v[vgprValuC+151], s[54:55]   // 
v_cvt_pk_fp8_f32  v150, v6, v7 op_sel:[0,0,0]      // convert two f32 accumulated values to fp8 and save it to lo_16[0:15]
s_lshl_b32  s54, s[sgprStrideD1J], 0               // incToNextRow: Scale by BPE
	;; [unrolled: 11-line block ×15, first 2 shown]
s_add_u32  s[sgprSrdD+0], s[sgprSrdD+0], s54       // incToNextRow: gra SRD += inc(lower)
s_addc_u32  s[sgprSrdD+1], s[sgprSrdD+1], 0        // incToNextRow: gra SRD += inc(upper)
_buffer_store_b16 v176, v11, s[sgprSrdD:sgprSrdD+3], 0, offen, offset:0 // store D
v_cmp_class_f32 s[54:55], v[vgprValuC+178], v10    // check NaN and +/-INF
v_med3_f32 v6, v[vgprValuC+178], v8, v9            // Clipping f32 value if exceeds the limit
v_cndmask_b32 v6, v6, v[vgprValuC+178], s[54:55]   // 
v_cmp_class_f32 s[54:55], v[vgprValuC+179], v10    // check NaN and +/-INF
v_med3_f32 v7, v[vgprValuC+179], v8, v9            // Clipping f32 value if exceeds the limit
v_cndmask_b32 v7, v7, v[vgprValuC+179], s[54:55]   // 
v_cvt_pk_fp8_f32  v178, v6, v7 op_sel:[0,0,0]      // convert two f32 accumulated values to fp8 and save it to lo_16[0:15]
s_mul_i32 s54, s[sgprStrideD1J], 17                // scale StrideD *= numRows(17) * bpe
s_add_u32  s[sgprSrdD+0], s[sgprSrdD+0], s54       // incToNextRow: gra SRD += inc(lower)
s_addc_u32  s[sgprSrdD+1], s[sgprSrdD+1], 0        // incToNextRow: gra SRD += inc(upper)
_buffer_store_b16 v178, v11, s[sgprSrdD:sgprSrdD+3], 0, offen, offset:0 // store D
v_cmp_class_f32 s[54:55], v[vgprValuC+180], v10    // check NaN and +/-INF
v_med3_f32 v6, v[vgprValuC+180], v8, v9            // Clipping f32 value if exceeds the limit
v_cndmask_b32 v6, v6, v[vgprValuC+180], s[54:55]   // 
v_cmp_class_f32 s[54:55], v[vgprValuC+181], v10    // check NaN and +/-INF
v_med3_f32 v7, v[vgprValuC+181], v8, v9            // Clipping f32 value if exceeds the limit
v_cndmask_b32 v7, v7, v[vgprValuC+181], s[54:55]   // 
v_cvt_pk_fp8_f32  v180, v6, v7 op_sel:[0,0,0]      // convert two f32 accumulated values to fp8 and save it to lo_16[0:15]
s_lshl_b32  s54, s[sgprStrideD1J], 0               // incToNextRow: Scale by BPE
s_add_u32  s[sgprSrdD+0], s[sgprSrdD+0], s54       // incToNextRow: gra SRD += inc(lower)
s_addc_u32  s[sgprSrdD+1], s[sgprSrdD+1], 0        // incToNextRow: gra SRD += inc(upper)
_buffer_store_b16 v180, v11, s[sgprSrdD:sgprSrdD+3], 0, offen, offset:0 // store D
v_cmp_class_f32 s[54:55], v[vgprValuC+182], v10    // check NaN and +/-INF
v_med3_f32 v6, v[vgprValuC+182], v8, v9            // Clipping f32 value if exceeds the limit
v_cndmask_b32 v6, v6, v[vgprValuC+182], s[54:55]   // 
v_cmp_class_f32 s[54:55], v[vgprValuC+183], v10    // check NaN and +/-INF
v_med3_f32 v7, v[vgprValuC+183], v8, v9            // Clipping f32 value if exceeds the limit
v_cndmask_b32 v7, v7, v[vgprValuC+183], s[54:55]   // 
v_cvt_pk_fp8_f32  v182, v6, v7 op_sel:[0,0,0]      // convert two f32 accumulated values to fp8 and save it to lo_16[0:15]
s_lshl_b32  s54, s[sgprStrideD1J], 0               // incToNextRow: Scale by BPE
	;; [unrolled: 11-line block ×15, first 2 shown]
s_add_u32  s[sgprSrdD+0], s[sgprSrdD+0], s54       // incToNextRow: gra SRD += inc(lower)
s_addc_u32  s[sgprSrdD+1], s[sgprSrdD+1], 0        // incToNextRow: gra SRD += inc(upper)
_buffer_store_b16 v208, v11, s[sgprSrdD:sgprSrdD+3], 0, offen, offset:0 // store D
v_cmp_class_f32 s[54:55], v[vgprValuC+210], v10    // check NaN and +/-INF
v_med3_f32 v6, v[vgprValuC+210], v8, v9            // Clipping f32 value if exceeds the limit
v_cndmask_b32 v6, v6, v[vgprValuC+210], s[54:55]   // 
v_cmp_class_f32 s[54:55], v[vgprValuC+211], v10    // check NaN and +/-INF
v_med3_f32 v7, v[vgprValuC+211], v8, v9            // Clipping f32 value if exceeds the limit
v_cndmask_b32 v7, v7, v[vgprValuC+211], s[54:55]   // 
v_cvt_pk_fp8_f32  v210, v6, v7 op_sel:[0,0,0]      // convert two f32 accumulated values to fp8 and save it to lo_16[0:15]
s_mul_i32 s54, s[sgprStrideD1J], 17                // scale StrideD *= numRows(17) * bpe
s_add_u32  s[sgprSrdD+0], s[sgprSrdD+0], s54       // incToNextRow: gra SRD += inc(lower)
s_addc_u32  s[sgprSrdD+1], s[sgprSrdD+1], 0        // incToNextRow: gra SRD += inc(upper)
_buffer_store_b16 v210, v11, s[sgprSrdD:sgprSrdD+3], 0, offen, offset:0 // store D
v_cmp_class_f32 s[54:55], v[vgprValuC+212], v10    // check NaN and +/-INF
v_med3_f32 v6, v[vgprValuC+212], v8, v9            // Clipping f32 value if exceeds the limit
v_cndmask_b32 v6, v6, v[vgprValuC+212], s[54:55]   // 
v_cmp_class_f32 s[54:55], v[vgprValuC+213], v10    // check NaN and +/-INF
v_med3_f32 v7, v[vgprValuC+213], v8, v9            // Clipping f32 value if exceeds the limit
v_cndmask_b32 v7, v7, v[vgprValuC+213], s[54:55]   // 
v_cvt_pk_fp8_f32  v212, v6, v7 op_sel:[0,0,0]      // convert two f32 accumulated values to fp8 and save it to lo_16[0:15]
s_lshl_b32  s54, s[sgprStrideD1J], 0               // incToNextRow: Scale by BPE
s_add_u32  s[sgprSrdD+0], s[sgprSrdD+0], s54       // incToNextRow: gra SRD += inc(lower)
s_addc_u32  s[sgprSrdD+1], s[sgprSrdD+1], 0        // incToNextRow: gra SRD += inc(upper)
_buffer_store_b16 v212, v11, s[sgprSrdD:sgprSrdD+3], 0, offen, offset:0 // store D
v_cmp_class_f32 s[54:55], v[vgprValuC+214], v10    // check NaN and +/-INF
v_med3_f32 v6, v[vgprValuC+214], v8, v9            // Clipping f32 value if exceeds the limit
v_cndmask_b32 v6, v6, v[vgprValuC+214], s[54:55]   // 
v_cmp_class_f32 s[54:55], v[vgprValuC+215], v10    // check NaN and +/-INF
v_med3_f32 v7, v[vgprValuC+215], v8, v9            // Clipping f32 value if exceeds the limit
v_cndmask_b32 v7, v7, v[vgprValuC+215], s[54:55]   // 
v_cvt_pk_fp8_f32  v214, v6, v7 op_sel:[0,0,0]      // convert two f32 accumulated values to fp8 and save it to lo_16[0:15]
s_lshl_b32  s54, s[sgprStrideD1J], 0               // incToNextRow: Scale by BPE
	;; [unrolled: 11-line block ×15, first 2 shown]
s_add_u32  s[sgprSrdD+0], s[sgprSrdD+0], s54       // incToNextRow: gra SRD += inc(lower)
s_addc_u32  s[sgprSrdD+1], s[sgprSrdD+1], 0        // incToNextRow: gra SRD += inc(upper)
_buffer_store_b16 v240, v11, s[sgprSrdD:sgprSrdD+3], 0, offen, offset:0 // store D
v_cmp_class_f32 s[54:55], v[vgprValuC+242], v10    // check NaN and +/-INF
v_med3_f32 v6, v[vgprValuC+242], v8, v9            // Clipping f32 value if exceeds the limit
v_cndmask_b32 v6, v6, v[vgprValuC+242], s[54:55]   // 
v_cmp_class_f32 s[54:55], v[vgprValuC+243], v10    // check NaN and +/-INF
v_med3_f32 v7, v[vgprValuC+243], v8, v9            // Clipping f32 value if exceeds the limit
v_cndmask_b32 v7, v7, v[vgprValuC+243], s[54:55]   // 
v_cvt_pk_fp8_f32  v242, v6, v7 op_sel:[0,0,0]      // convert two f32 accumulated values to fp8 and save it to lo_16[0:15]
s_mul_i32 s54, s[sgprStrideD1J], 17                // scale StrideD *= numRows(17) * bpe
s_add_u32  s[sgprSrdD+0], s[sgprSrdD+0], s54       // incToNextRow: gra SRD += inc(lower)
s_addc_u32  s[sgprSrdD+1], s[sgprSrdD+1], 0        // incToNextRow: gra SRD += inc(upper)
_buffer_store_b16 v242, v11, s[sgprSrdD:sgprSrdD+3], 0, offen, offset:0 // store D
v_cmp_class_f32 s[54:55], v[vgprValuC+244], v10    // check NaN and +/-INF
v_med3_f32 v6, v[vgprValuC+244], v8, v9            // Clipping f32 value if exceeds the limit
v_cndmask_b32 v6, v6, v[vgprValuC+244], s[54:55]   // 
v_cmp_class_f32 s[54:55], v[vgprValuC+245], v10    // check NaN and +/-INF
v_med3_f32 v7, v[vgprValuC+245], v8, v9            // Clipping f32 value if exceeds the limit
v_cndmask_b32 v7, v7, v[vgprValuC+245], s[54:55]   // 
v_cvt_pk_fp8_f32  v244, v6, v7 op_sel:[0,0,0]      // convert two f32 accumulated values to fp8 and save it to lo_16[0:15]
s_lshl_b32  s54, s[sgprStrideD1J], 0               // incToNextRow: Scale by BPE
s_add_u32  s[sgprSrdD+0], s[sgprSrdD+0], s54       // incToNextRow: gra SRD += inc(lower)
s_addc_u32  s[sgprSrdD+1], s[sgprSrdD+1], 0        // incToNextRow: gra SRD += inc(upper)
_buffer_store_b16 v244, v11, s[sgprSrdD:sgprSrdD+3], 0, offen, offset:0 // store D
v_cmp_class_f32 s[54:55], v[vgprValuC+246], v10    // check NaN and +/-INF
v_med3_f32 v6, v[vgprValuC+246], v8, v9            // Clipping f32 value if exceeds the limit
v_cndmask_b32 v6, v6, v[vgprValuC+246], s[54:55]   // 
v_cmp_class_f32 s[54:55], v[vgprValuC+247], v10    // check NaN and +/-INF
v_med3_f32 v7, v[vgprValuC+247], v8, v9            // Clipping f32 value if exceeds the limit
v_cndmask_b32 v7, v7, v[vgprValuC+247], s[54:55]   // 
v_cvt_pk_fp8_f32  v246, v6, v7 op_sel:[0,0,0]      // convert two f32 accumulated values to fp8 and save it to lo_16[0:15]
s_lshl_b32  s54, s[sgprStrideD1J], 0               // incToNextRow: Scale by BPE
	;; [unrolled: 11-line block ×6, first 2 shown]
s_add_u32  s[sgprSrdD+0], s[sgprSrdD+0], s54       // incToNextRow: gra SRD += inc(lower)
s_addc_u32  s[sgprSrdD+1], s[sgprSrdD+1], 0        // incToNextRow: gra SRD += inc(upper)
_buffer_store_b16 v254, v11, s[sgprSrdD:sgprSrdD+3], 0, offen, offset:0 // store D
s_nop 0                                            // 1 wait state required when next inst writes vgprs held by previous dwordx4 store inst
/* optSingleColVgpr=1 optSharedColVgpr=0 optSGPRUsage=BufferLoad_Mask optSrdIncForRow=1 */

/******************************************/
/* Global Write Batch #1 (d1,d0,vc1,vc0) = */
/*    (7,0,7,0:vw2); (7,0,8,0:vw2); (7,0,9,0:vw2); (7,0,10,0:vw2); (7,0,11,0:vw2); (7,0,12,0:vw2); (7,0,13,0:vw2); (7,0,14,0:vw2); (7,0,15,0:vw2) */
/******************************************/

/* calc coords, apply mask, and issue loads (if necessary) */
/* (d1,vc1,d0,vc0)=(7,7,0,0) */
/* (d1,vc1,d0,vc0)=(7,8,0,0) */
	;; [unrolled: 1-line block ×9, first 2 shown]
v_accvgpr_read_b32 v[vgprValuC+14], acc237 // copy acc to vreg[238]
v_accvgpr_read_b32 v[vgprValuC+15], acc253 // copy acc to vreg[239]
v_accvgpr_read_b32 v[vgprValuC+16], acc142 // copy acc to vreg[240]
v_accvgpr_read_b32 v[vgprValuC+17], acc158 // copy acc to vreg[241]
v_accvgpr_read_b32 v[vgprValuC+18], acc174 // copy acc to vreg[242]
v_accvgpr_read_b32 v[vgprValuC+19], acc190 // copy acc to vreg[243]
v_accvgpr_read_b32 v[vgprValuC+20], acc206 // copy acc to vreg[244]
v_accvgpr_read_b32 v[vgprValuC+21], acc222 // copy acc to vreg[245]
v_accvgpr_read_b32 v[vgprValuC+22], acc238 // copy acc to vreg[246]
v_accvgpr_read_b32 v[vgprValuC+23], acc254 // copy acc to vreg[247]
v_accvgpr_read_b32 v[vgprValuC+24], acc143 // copy acc to vreg[248]
v_accvgpr_read_b32 v[vgprValuC+25], acc159 // copy acc to vreg[249]
v_accvgpr_read_b32 v[vgprValuC+26], acc175 // copy acc to vreg[250]
v_accvgpr_read_b32 v[vgprValuC+27], acc191 // copy acc to vreg[251]
v_accvgpr_read_b32 v[vgprValuC+28], acc207 // copy acc to vreg[252]
v_accvgpr_read_b32 v[vgprValuC+29], acc223 // copy acc to vreg[253]
v_accvgpr_read_b32 v[vgprValuC+30], acc239 // copy acc to vreg[254]
v_accvgpr_read_b32 v[vgprValuC+31], acc255 // copy acc to vreg[255]
s_nop 1                                            // 2 wait states required before reading vgpr

/* apply mask, calc new C and issue writes */
v_mov_b32 v10, 0x207                               // flag for Nan and +/- inf
v_mov_b32 v8, 0x43700000                           // save 240.0f as max for clipping
v_mov_b32 v9, 0xC3700000                           // save -240.0f as min for clipping
v_cmp_class_f32 s[54:55], v[vgprValuC+14], v10     // check NaN and +/-INF
v_med3_f32 v6, v[vgprValuC+14], v8, v9             // Clipping f32 value if exceeds the limit
v_cndmask_b32 v6, v6, v[vgprValuC+14], s[54:55]    // 
v_cmp_class_f32 s[54:55], v[vgprValuC+15], v10     // check NaN and +/-INF
v_med3_f32 v7, v[vgprValuC+15], v8, v9             // Clipping f32 value if exceeds the limit
v_cndmask_b32 v7, v7, v[vgprValuC+15], s[54:55]    // 
v_cvt_pk_fp8_f32  v14, v6, v7 op_sel:[0,0,0]       // convert two f32 accumulated values to fp8 and save it to lo_16[0:15]
s_lshl_b32  s54, s[sgprStrideD1J], 0               // incToNextRow: Scale by BPE
s_add_u32  s[sgprSrdD+0], s[sgprSrdD+0], s54       // incToNextRow: gra SRD += inc(lower)
s_addc_u32  s[sgprSrdD+1], s[sgprSrdD+1], 0        // incToNextRow: gra SRD += inc(upper)
_buffer_store_b16 v14, v11, s[sgprSrdD:sgprSrdD+3], 0, offen, offset:0 // store D
v_cmp_class_f32 s[54:55], v[vgprValuC+16], v10     // check NaN and +/-INF
v_med3_f32 v6, v[vgprValuC+16], v8, v9             // Clipping f32 value if exceeds the limit
v_cndmask_b32 v6, v6, v[vgprValuC+16], s[54:55]    // 
v_cmp_class_f32 s[54:55], v[vgprValuC+17], v10     // check NaN and +/-INF
v_med3_f32 v7, v[vgprValuC+17], v8, v9             // Clipping f32 value if exceeds the limit
v_cndmask_b32 v7, v7, v[vgprValuC+17], s[54:55]    // 
v_cvt_pk_fp8_f32  v16, v6, v7 op_sel:[0,0,0]       // convert two f32 accumulated values to fp8 and save it to lo_16[0:15]
s_lshl_b32  s54, s[sgprStrideD1J], 0               // incToNextRow: Scale by BPE
s_add_u32  s[sgprSrdD+0], s[sgprSrdD+0], s54       // incToNextRow: gra SRD += inc(lower)
s_addc_u32  s[sgprSrdD+1], s[sgprSrdD+1], 0        // incToNextRow: gra SRD += inc(upper)
_buffer_store_b16 v16, v11, s[sgprSrdD:sgprSrdD+3], 0, offen, offset:0 // store D
	;; [unrolled: 11-line block ×9, first 2 shown]
s_nop 0                                            // 1 wait state required when next inst writes vgprs held by previous dwordx4 store inst
s_branch label_GW_End_23                           // jump to end
label_GW_End_23:

s_endpgm                                           // Kernel End
OptNLL_End_17:


/******************************************/
/* Ord. NoLoadLoop - Begin                                      */
/******************************************/


	;; [unrolled: 1-line block ×4, first 2 shown]
/* iter 0 (last unrolled loop) */

/*  grEndMfmaIndex:0, lwStartMfmaIndex:48, lwEndMfmaIndex:48  */
/*  numMfmaForLR:14, barrierMfmaIndex:49, LocalWritePerMfma:0.225 */
/*  mfmaIndex:0  */
s_waitcnt lgkmcnt(0)                               // lgkmcnt=0 vmcnt=-1wait for prior local read local write old=0, new=0 newLW=0 newLR=0
v_mfma_f32_32x32x16_fp8_fp8 a[0+0:15+0], v[vgprValuB_X0_I0+0+0+0:vgprValuB_X0_I0+0+0+0+1], v[vgprValuA_X0_I0+0+0+0:vgprValuA_X0_I0+0+0+0+1], a[0:15]
/*  mfmaIndex:1  */
_ds_load_b128 v[vgprValuA_X2_I0+0:vgprValuA_X2_I0+0+3], v[vgprLocalReadAddrA] offset:32 // L -> Reg lro=32 swapByteOffset=0 ti=256 vIdx=0 rIdx=0 oIdx=0 buffer=2 iui=0
v_mfma_f32_32x32x16_fp8_fp8 a[16+0:31+0], v[vgprValuB_X0_I0+0+0+0:vgprValuB_X0_I0+0+0+0+1], v[vgprValuA_X0_I0+4+0+0:vgprValuA_X0_I0+4+0+0+1], a[16:31]
/*  mfmaIndex:2  */
_ds_load_b128 v[vgprValuB_X2_I0+0:vgprValuB_X2_I0+0+3], v[vgprLocalReadAddrB] offset:32 // L -> Reg lro=32 swapByteOffset=0 ti=128 vIdx=0 rIdx=0 oIdx=0 buffer=2 iui=0
v_mfma_f32_32x32x16_fp8_fp8 a[48+0:63+0], v[vgprValuB_X0_I0+4+0+0:vgprValuB_X0_I0+4+0+0+1], v[vgprValuA_X0_I0+4+0+0:vgprValuA_X0_I0+4+0+0+1], a[48:63]
/*  mfmaIndex:3  */
_ds_load_b128 v[vgprValuA_X2_I0+4:vgprValuA_X2_I0+4+3], v[vgprLocalReadAddrA] offset:96 // L -> Reg lro=32 swapByteOffset=0 ti=256 vIdx=0 rIdx=0 oIdx=0 buffer=2 iui=0
v_mfma_f32_32x32x16_fp8_fp8 a[32+0:47+0], v[vgprValuB_X0_I0+4+0+0:vgprValuB_X0_I0+4+0+0+1], v[vgprValuA_X0_I0+0+0+0:vgprValuA_X0_I0+0+0+0+1], a[32:47]
/*  mfmaIndex:4  */
_ds_load_b128 v[vgprValuB_X2_I0+4:vgprValuB_X2_I0+4+3], v[vgprLocalReadAddrB] offset:96 // L -> Reg lro=32 swapByteOffset=0 ti=128 vIdx=0 rIdx=0 oIdx=0 buffer=2 iui=0
v_mfma_f32_32x32x16_fp8_fp8 a[64+0:79+0], v[vgprValuB_X0_I0+8+0+0:vgprValuB_X0_I0+8+0+0+1], v[vgprValuA_X0_I0+0+0+0:vgprValuA_X0_I0+0+0+0+1], a[64:79]
/*  mfmaIndex:5  */
_ds_load_b128 v[vgprValuB_X2_I0+8:vgprValuB_X2_I0+8+3], v[vgprLocalReadAddrB] offset:176 // L -> Reg lro=32 swapByteOffset=0 ti=128 vIdx=0 rIdx=0 oIdx=0 buffer=2 iui=0
v_mfma_f32_32x32x16_fp8_fp8 a[80+0:95+0], v[vgprValuB_X0_I0+8+0+0:vgprValuB_X0_I0+8+0+0+1], v[vgprValuA_X0_I0+4+0+0:vgprValuA_X0_I0+4+0+0+1], a[80:95]
/*  mfmaIndex:6  */
_ds_load_b128 v[vgprValuB_X2_I0+12:vgprValuB_X2_I0+12+3], v[vgprLocalReadAddrB] offset:240 // L -> Reg lro=32 swapByteOffset=0 ti=128 vIdx=0 rIdx=0 oIdx=0 buffer=2 iui=0
v_mfma_f32_32x32x16_fp8_fp8 a[112+0:127+0], v[vgprValuB_X0_I0+12+0+0:vgprValuB_X0_I0+12+0+0+1], v[vgprValuA_X0_I0+4+0+0:vgprValuA_X0_I0+4+0+0+1], a[112:127]
/*  mfmaIndex:7  */
_ds_load_b128 v[vgprValuB_X2_I0+16:vgprValuB_X2_I0+16+3], v[vgprLocalReadAddrB] offset:9248 // L -> Reg lro=32 swapByteOffset=0 ti=128 vIdx=1 rIdx=0 oIdx=0 buffer=2 iui=0
v_mfma_f32_32x32x16_fp8_fp8 a[96+0:111+0], v[vgprValuB_X0_I0+12+0+0:vgprValuB_X0_I0+12+0+0+1], v[vgprValuA_X0_I0+0+0+0:vgprValuA_X0_I0+0+0+0+1], a[96:111]
/*  mfmaIndex:8  */
_ds_load_b128 v[vgprValuB_X2_I0+20:vgprValuB_X2_I0+20+3], v[vgprLocalReadAddrB] offset:9312 // L -> Reg lro=32 swapByteOffset=0 ti=128 vIdx=1 rIdx=0 oIdx=0 buffer=2 iui=0
v_mfma_f32_32x32x16_fp8_fp8 a[128+0:143+0], v[vgprValuB_X0_I0+16+0+0:vgprValuB_X0_I0+16+0+0+1], v[vgprValuA_X0_I0+0+0+0:vgprValuA_X0_I0+0+0+0+1], a[128:143]
/*  mfmaIndex:9  */
_ds_load_b128 v[vgprValuB_X2_I0+24:vgprValuB_X2_I0+24+3], v[vgprLocalReadAddrB] offset:9392 // L -> Reg lro=32 swapByteOffset=0 ti=128 vIdx=1 rIdx=0 oIdx=0 buffer=2 iui=0
v_mfma_f32_32x32x16_fp8_fp8 a[144+0:159+0], v[vgprValuB_X0_I0+16+0+0:vgprValuB_X0_I0+16+0+0+1], v[vgprValuA_X0_I0+4+0+0:vgprValuA_X0_I0+4+0+0+1], a[144:159]
/*  mfmaIndex:10  */
_ds_load_b128 v[vgprValuB_X2_I0+28:vgprValuB_X2_I0+28+3], v[vgprLocalReadAddrB] offset:9456 // L -> Reg lro=32 swapByteOffset=0 ti=128 vIdx=1 rIdx=0 oIdx=0 buffer=2 iui=0
/* localReadsVacancy: latencyLeft 2 */
v_mfma_f32_32x32x16_fp8_fp8 a[176+0:191+0], v[vgprValuB_X0_I0+20+0+0:vgprValuB_X0_I0+20+0+0+1], v[vgprValuA_X0_I0+4+0+0:vgprValuA_X0_I0+4+0+0+1], a[176:191]
/*  mfmaIndex:11  */
/* localReadsVacancy: latencyLeft 6 */
v_mfma_f32_32x32x16_fp8_fp8 a[160+0:175+0], v[vgprValuB_X0_I0+20+0+0:vgprValuB_X0_I0+20+0+0+1], v[vgprValuA_X0_I0+0+0+0:vgprValuA_X0_I0+0+0+0+1], a[160:175]
/*  mfmaIndex:12  */
	;; [unrolled: 3-line block ×5, first 2 shown]
/* localReadsVacancy: latencyLeft 6 */
v_mfma_f32_32x32x16_fp8_fp8 a[224+0:239+0], v[vgprValuB_X0_I0+28+0+0:vgprValuB_X0_I0+28+0+0+1], v[vgprValuA_X0_I0+0+0+0:vgprValuA_X0_I0+0+0+0+1], a[224:239]
/* numPrefetchIter=0 */
/* dataAtIterA=-1 numReadsIterA=1 skipReadsIterA=1 readsPerIterA=2 */
/* dataAtIterB=-1 numReadsIterB=1 skipReadsIterB=1 readsPerIterB=8 */


/* iter 1 (last unrolled loop) */

/*  grEndMfmaIndex:0, lwStartMfmaIndex:48, lwEndMfmaIndex:48  */
/*  numMfmaForLR:14, barrierMfmaIndex:49, LocalWritePerMfma:0.225 */
/*  mfmaIndex:16  */
/* localReadsVacancy: latencyLeft 6 */
s_waitcnt lgkmcnt(10)                              // lgkmcnt=0 vmcnt=-1wait for prior local read local write old=0, new=10 newLW=0 newLR=10
v_mfma_f32_32x32x16_fp8_fp8 a[0+0:15+0], v[vgprValuB_X0_I0+0+2+0:vgprValuB_X0_I0+0+2+0+1], v[vgprValuA_X0_I0+0+2+0:vgprValuA_X0_I0+0+2+0+1], a[0:15]
/*  mfmaIndex:17  */
/* localReadsVacancy: latencyLeft 6 */
v_mfma_f32_32x32x16_fp8_fp8 a[16+0:31+0], v[vgprValuB_X0_I0+0+2+0:vgprValuB_X0_I0+0+2+0+1], v[vgprValuA_X0_I0+4+2+0:vgprValuA_X0_I0+4+2+0+1], a[16:31]
/*  mfmaIndex:18  */
/* localReadsVacancy: latencyLeft 6 */
	;; [unrolled: 3-line block ×15, first 2 shown]
v_mfma_f32_32x32x16_fp8_fp8 a[224+0:239+0], v[vgprValuB_X0_I0+28+2+0:vgprValuB_X0_I0+28+2+0+1], v[vgprValuA_X0_I0+0+2+0:vgprValuA_X0_I0+0+2+0+1], a[224:239]
/* numPrefetchIter=0 */
/* dataAtIterA=-1 numReadsIterA=1 skipReadsIterA=1 readsPerIterA=2 */
/* dataAtIterB=-1 numReadsIterB=1 skipReadsIterB=1 readsPerIterB=8 */


/* iter 2 (last unrolled loop) */

/*  grEndMfmaIndex:0, lwStartMfmaIndex:48, lwEndMfmaIndex:48  */
/*  numMfmaForLR:14, barrierMfmaIndex:49, LocalWritePerMfma:0.225 */
/*  mfmaIndex:32  */
/* localReadsVacancy: latencyLeft 6 */
s_waitcnt lgkmcnt(0)                               // lgkmcnt=0 vmcnt=-1wait for prior local read local write old=0, new=0 newLW=0 newLR=0
v_mfma_f32_32x32x16_fp8_fp8 a[0+0:15+0], v[vgprValuB_X2_I0+0+0+0:vgprValuB_X2_I0+0+0+0+1], v[vgprValuA_X2_I0+0+0+0:vgprValuA_X2_I0+0+0+0+1], a[0:15]
/*  mfmaIndex:33  */
/* localReadsVacancy: latencyLeft 6 */
v_mfma_f32_32x32x16_fp8_fp8 a[16+0:31+0], v[vgprValuB_X2_I0+0+0+0:vgprValuB_X2_I0+0+0+0+1], v[vgprValuA_X2_I0+4+0+0:vgprValuA_X2_I0+4+0+0+1], a[16:31]
/*  mfmaIndex:34  */
/* localReadsVacancy: latencyLeft 6 */
	;; [unrolled: 3-line block ×15, first 2 shown]
/* 1 LDS buffer: read-sync-write */
s_waitcnt lgkmcnt(0)                               // 
s_barrier                                          // 
v_mfma_f32_32x32x16_fp8_fp8 a[224+0:239+0], v[vgprValuB_X2_I0+28+0+0:vgprValuB_X2_I0+28+0+0+1], v[vgprValuA_X2_I0+0+0+0:vgprValuA_X2_I0+0+0+0+1], a[224:239]
/* numPrefetchIter=0 */
/* dataAtIterA=0 numReadsIterA=1 skipReadsIterA=0 readsPerIterA=2 */
/* dataAtIterB=0 numReadsIterB=1 skipReadsIterB=0 readsPerIterB=8 */


/* iter 3 (last unrolled loop) */

/*  grEndMfmaIndex:0, lwStartMfmaIndex:48, lwEndMfmaIndex:48  */
/*  numMfmaForLR:14, barrierMfmaIndex:49, LocalWritePerMfma:0.225 */
/*  mfmaIndex:48  */
s_waitcnt lgkmcnt(0)                               // lgkmcnt=0 vmcnt=-1wait for prior local read local write old=0, new=0 newLW=0 newLR=0
v_mfma_f32_32x32x16_fp8_fp8 a[0+0:15+0], v[vgprValuB_X2_I0+0+2+0:vgprValuB_X2_I0+0+2+0+1], v[vgprValuA_X2_I0+0+2+0:vgprValuA_X2_I0+0+2+0+1], a[0:15]
/*  mfmaIndex:49  */
v_mfma_f32_32x32x16_fp8_fp8 a[16+0:31+0], v[vgprValuB_X2_I0+0+2+0:vgprValuB_X2_I0+0+2+0+1], v[vgprValuA_X2_I0+4+2+0:vgprValuA_X2_I0+4+2+0+1], a[16:31]
/*  mfmaIndex:50  */
	;; [unrolled: 2-line block ×15, first 2 shown]
v_mfma_f32_32x32x16_fp8_fp8 a[224+0:239+0], v[vgprValuB_X2_I0+28+2+0:vgprValuB_X2_I0+28+2+0+1], v[vgprValuA_X2_I0+0+2+0:vgprValuA_X2_I0+0+2+0+1], a[224:239]
/* numPrefetchIter=0 */
/* dataAtIterA=0 numReadsIterA=1 skipReadsIterA=0 readsPerIterA=2 */
/* dataAtIterB=0 numReadsIterB=1 skipReadsIterB=0 readsPerIterB=8 */

PrefetchGlobalLastIterEnd_5:


/******************************************/
/* Tail Loop                              */
/******************************************/


/* local write reset offsets a */


	;; [unrolled: 1-line block ×4, first 2 shown]
/* local write reset offsets b */


	;; [unrolled: 1-line block ×4, first 2 shown]
//numIterL = (((sizeL % LOCAL_DEPTHU) + LOCAL_SPLITU - 1) / LOCAL_SPLITU)
s_and_b32 s[sgprLoopCounterL], 63, s[sgprSizesSum+0] // s[sgprLoopCounterL] = s[sgprSizesSum+0] % 64
s_cmp_eq_u32 s[sgprLoopCounterL], 0x0              // numIterL == 0
s_cbranch_scc1 SkipTailLoopL_8                     // skip to end of tail loop b/c numIter==0
s_mov_b32 s[sgprOrigLoopCounter], 0                // repurpose to count each localRead increment


/* remove stagger offsets for tail loop */

s_mov_b32 s66, 3                                   // 
s_mul_hi_u32 s65, s66, s[sgprGlobalReadIncsA+0]    // 3 * GlobalReadIncs
s_mul_i32 s64, s66, s[sgprGlobalReadIncsA+0]       // 3 * GlobalReadIncs
s_mul_hi_u32 s67, s[sgprStaggerUIter], s[sgprGlobalReadIncsA+0] // StaggerUIter * GlobalReadIncs
s_mul_i32 s66, s[sgprStaggerUIter], s[sgprGlobalReadIncsA+0] // StaggerUIter * GlobalReadIncs
s_sub_u32 s64, s64, s66                            // start offset S in bytes
s_subb_u32 s65, s65, s67                           // start offset S in bytes
s_sub_u32 s64, s64, s[sgprWrapUA]                  // S - WrapU
s_subb_u32 s65, s65, s[sgprWrapUA+1]               // S - WrapU
s_add_u32 s[sgprSrdA+0], s[sgprSrdA+0], s64        // gra SRD += inc(lower)
s_addc_u32  s[sgprSrdA+1], s[sgprSrdA+1], s65      // gra SRD += inc(upper)
s_sub_u32 s[sgprShadowLimitA+0], s[sgprShadowLimitA+0], s64 // limit -= inc)
s_subb_u32 s[sgprShadowLimitA+1], s[sgprShadowLimitA+1], s65 // limit -= inc)
s_cmp_eq_u32 s[sgprShadowLimitA+1], 0              // are we within 2^32?
s_cselect_b32 s[sgprSrdA+2], s[sgprShadowLimitA+0], BufferLimitA // Move shadow to real if we are within 2^32

s_mov_b32 s66, 3                                   // 
s_mul_hi_u32 s65, s66, s[sgprGlobalReadIncsB+0]    // 3 * GlobalReadIncs
s_mul_i32 s64, s66, s[sgprGlobalReadIncsB+0]       // 3 * GlobalReadIncs
s_mul_hi_u32 s67, s[sgprStaggerUIter], s[sgprGlobalReadIncsB+0] // StaggerUIter * GlobalReadIncs
s_mul_i32 s66, s[sgprStaggerUIter], s[sgprGlobalReadIncsB+0] // StaggerUIter * GlobalReadIncs
s_sub_u32 s64, s64, s66                            // start offset S in bytes
s_subb_u32 s65, s65, s67                           // start offset S in bytes
s_sub_u32 s64, s64, s[sgprWrapUB]                  // S - WrapU
s_subb_u32 s65, s65, s[sgprWrapUB+1]               // S - WrapU
s_add_u32 s[sgprSrdB+0], s[sgprSrdB+0], s64        // gra SRD += inc(lower)
s_addc_u32  s[sgprSrdB+1], s[sgprSrdB+1], s65      // gra SRD += inc(upper)
s_sub_u32 s[sgprShadowLimitB+0], s[sgprShadowLimitB+0], s64 // limit -= inc)
s_subb_u32 s[sgprShadowLimitB+1], s[sgprShadowLimitB+1], s65 // limit -= inc)
s_cmp_eq_u32 s[sgprShadowLimitB+1], 0              // are we within 2^32?
s_cselect_b32 s[sgprSrdB+2], s[sgprShadowLimitB+0], BufferLimitB // Move shadow to real if we are within 2^32


/* Update M0 for DTLDS */



/* global read a */

/* g2l=0, load component 0 */
_buffer_load_d16_u8 v[vgprG2LA+0+0], v[vgprGlobalReadOffsetA+0], s[sgprSrdA:sgprSrdA+3], 0, offen offset:0 // load one buffer value
/* g2l=0, load component 1 */
_buffer_load_d16_u8 v119, v[vgprGlobalReadOffsetA+0], s[sgprSrdA:sgprSrdA+3], 0, offen offset:1 // load one buffer value
/* g2l=0, load component 2 */
_buffer_load_d16_hi_u8 v120, v[vgprGlobalReadOffsetA+0], s[sgprSrdA:sgprSrdA+3], 0, offen offset:2 // load one buffer value
/* g2l=0, load component 3 */
_buffer_load_d16_hi_u8 v121, v[vgprGlobalReadOffsetA+0], s[sgprSrdA:sgprSrdA+3], 0, offen offset:3 // load one buffer value
/* g2l=0, load component 4 */
_buffer_load_d16_u8 v[vgprG2LA+0+1], v[vgprGlobalReadOffsetA+0], s[sgprSrdA:sgprSrdA+3], 0, offen offset:4 // load one buffer value
/* g2l=0, load component 5 */
_buffer_load_d16_u8 v123, v[vgprGlobalReadOffsetA+0], s[sgprSrdA:sgprSrdA+3], 0, offen offset:5 // load one buffer value
/* g2l=0, load component 6 */
_buffer_load_d16_hi_u8 v124, v[vgprGlobalReadOffsetA+0], s[sgprSrdA:sgprSrdA+3], 0, offen offset:6 // load one buffer value
/* g2l=0, load component 7 */
_buffer_load_d16_hi_u8 v125, v[vgprGlobalReadOffsetA+0], s[sgprSrdA:sgprSrdA+3], 0, offen offset:7 // load one buffer value
	;; [unrolled: 8-line block ×4, first 2 shown]
s_waitcnt vmcnt(14)
v_lshlrev_b32 v119, 0x8, v119                      // shift left to higher 8 bits
v_or_b32 v[vgprG2LA+0+0], v[vgprG2LA+0+0], v119    // pack a sub 8-bit with dest
s_waitcnt vmcnt(13)
v_or_b32 v[vgprG2LA+0+0], v[vgprG2LA+0+0], v120    // pack a sub 8-bit with dest
s_waitcnt vmcnt(12)
v_lshlrev_b32 v121, 0x8, v121                      // shift left to higher 8 bits
v_or_b32 v[vgprG2LA+0+0], v[vgprG2LA+0+0], v121    // pack a sub 8-bit with dest
s_waitcnt vmcnt(10)
v_lshlrev_b32 v123, 0x8, v123                      // shift left to higher 8 bits
v_or_b32 v[vgprG2LA+0+1], v[vgprG2LA+0+1], v123    // pack a sub 8-bit with dest
s_waitcnt vmcnt(9)
v_or_b32 v[vgprG2LA+0+1], v[vgprG2LA+0+1], v124    // pack a sub 8-bit with dest
s_waitcnt vmcnt(8)
v_lshlrev_b32 v125, 0x8, v125                      // shift left to higher 8 bits
v_or_b32 v[vgprG2LA+0+1], v[vgprG2LA+0+1], v125    // pack a sub 8-bit with dest
s_waitcnt vmcnt(6)
v_lshlrev_b32 v127, 0x8, v127                      // shift left to higher 8 bits
v_or_b32 v[vgprG2LA+0+2], v[vgprG2LA+0+2], v127    // pack a sub 8-bit with dest
s_waitcnt vmcnt(5)
v_or_b32 v[vgprG2LA+0+2], v[vgprG2LA+0+2], v128    // pack a sub 8-bit with dest
s_waitcnt vmcnt(4)
v_lshlrev_b32 v129, 0x8, v129                      // shift left to higher 8 bits
v_or_b32 v[vgprG2LA+0+2], v[vgprG2LA+0+2], v129    // pack a sub 8-bit with dest
s_waitcnt vmcnt(2)
v_lshlrev_b32 v131, 0x8, v131                      // shift left to higher 8 bits
v_or_b32 v[vgprG2LA+0+3], v[vgprG2LA+0+3], v131    // pack a sub 8-bit with dest
s_waitcnt vmcnt(1)
v_or_b32 v[vgprG2LA+0+3], v[vgprG2LA+0+3], v132    // pack a sub 8-bit with dest
s_waitcnt vmcnt(0)
v_lshlrev_b32 v133, 0x8, v133                      // shift left to higher 8 bits
v_or_b32 v[vgprG2LA+0+3], v[vgprG2LA+0+3], v133    // pack a sub 8-bit with dest
/* g2l=4, load component 0 */
_buffer_load_d16_u8 v[vgprG2LA+4+0], v[vgprGlobalReadOffsetA+0], s[sgprSrdA:sgprSrdA+3], s[sgprScalarGlobalReadOffsetA+0], offen offset:0 // load one buffer value
/* g2l=4, load component 1 */
_buffer_load_d16_u8 v119, v[vgprGlobalReadOffsetA+0], s[sgprSrdA:sgprSrdA+3], s[sgprScalarGlobalReadOffsetA+0], offen offset:1 // load one buffer value
/* g2l=4, load component 2 */
_buffer_load_d16_hi_u8 v120, v[vgprGlobalReadOffsetA+0], s[sgprSrdA:sgprSrdA+3], s[sgprScalarGlobalReadOffsetA+0], offen offset:2 // load one buffer value
/* g2l=4, load component 3 */
_buffer_load_d16_hi_u8 v121, v[vgprGlobalReadOffsetA+0], s[sgprSrdA:sgprSrdA+3], s[sgprScalarGlobalReadOffsetA+0], offen offset:3 // load one buffer value
/* g2l=4, load component 4 */
_buffer_load_d16_u8 v[vgprG2LA+4+1], v[vgprGlobalReadOffsetA+0], s[sgprSrdA:sgprSrdA+3], s[sgprScalarGlobalReadOffsetA+0], offen offset:4 // load one buffer value
/* g2l=4, load component 5 */
_buffer_load_d16_u8 v123, v[vgprGlobalReadOffsetA+0], s[sgprSrdA:sgprSrdA+3], s[sgprScalarGlobalReadOffsetA+0], offen offset:5 // load one buffer value
/* g2l=4, load component 6 */
_buffer_load_d16_hi_u8 v124, v[vgprGlobalReadOffsetA+0], s[sgprSrdA:sgprSrdA+3], s[sgprScalarGlobalReadOffsetA+0], offen offset:6 // load one buffer value
/* g2l=4, load component 7 */
_buffer_load_d16_hi_u8 v125, v[vgprGlobalReadOffsetA+0], s[sgprSrdA:sgprSrdA+3], s[sgprScalarGlobalReadOffsetA+0], offen offset:7 // load one buffer value
/* g2l=4, load component 8 */
_buffer_load_d16_u8 v[vgprG2LA+4+2], v[vgprGlobalReadOffsetA+0], s[sgprSrdA:sgprSrdA+3], s[sgprScalarGlobalReadOffsetA+0], offen offset:8 // load one buffer value
/* g2l=4, load component 9 */
_buffer_load_d16_u8 v127, v[vgprGlobalReadOffsetA+0], s[sgprSrdA:sgprSrdA+3], s[sgprScalarGlobalReadOffsetA+0], offen offset:9 // load one buffer value
/* g2l=4, load component 10 */
_buffer_load_d16_hi_u8 v128, v[vgprGlobalReadOffsetA+0], s[sgprSrdA:sgprSrdA+3], s[sgprScalarGlobalReadOffsetA+0], offen offset:10 // load one buffer value
/* g2l=4, load component 11 */
_buffer_load_d16_hi_u8 v129, v[vgprGlobalReadOffsetA+0], s[sgprSrdA:sgprSrdA+3], s[sgprScalarGlobalReadOffsetA+0], offen offset:11 // load one buffer value
/* g2l=4, load component 12 */
_buffer_load_d16_u8 v[vgprG2LA+4+3], v[vgprGlobalReadOffsetA+0], s[sgprSrdA:sgprSrdA+3], s[sgprScalarGlobalReadOffsetA+0], offen offset:12 // load one buffer value
/* g2l=4, load component 13 */
_buffer_load_d16_u8 v131, v[vgprGlobalReadOffsetA+0], s[sgprSrdA:sgprSrdA+3], s[sgprScalarGlobalReadOffsetA+0], offen offset:13 // load one buffer value
/* g2l=4, load component 14 */
_buffer_load_d16_hi_u8 v132, v[vgprGlobalReadOffsetA+0], s[sgprSrdA:sgprSrdA+3], s[sgprScalarGlobalReadOffsetA+0], offen offset:14 // load one buffer value
/* g2l=4, load component 15 */
_buffer_load_d16_hi_u8 v133, v[vgprGlobalReadOffsetA+0], s[sgprSrdA:sgprSrdA+3], s[sgprScalarGlobalReadOffsetA+0], offen offset:15 // load one buffer value
s_waitcnt vmcnt(14)
v_lshlrev_b32 v119, 0x8, v119                      // shift left to higher 8 bits
v_or_b32 v[vgprG2LA+4+0], v[vgprG2LA+4+0], v119    // pack a sub 8-bit with dest
s_waitcnt vmcnt(13)
v_or_b32 v[vgprG2LA+4+0], v[vgprG2LA+4+0], v120    // pack a sub 8-bit with dest
s_waitcnt vmcnt(12)
v_lshlrev_b32 v121, 0x8, v121                      // shift left to higher 8 bits
v_or_b32 v[vgprG2LA+4+0], v[vgprG2LA+4+0], v121    // pack a sub 8-bit with dest
s_waitcnt vmcnt(10)
v_lshlrev_b32 v123, 0x8, v123                      // shift left to higher 8 bits
v_or_b32 v[vgprG2LA+4+1], v[vgprG2LA+4+1], v123    // pack a sub 8-bit with dest
s_waitcnt vmcnt(9)
v_or_b32 v[vgprG2LA+4+1], v[vgprG2LA+4+1], v124    // pack a sub 8-bit with dest
s_waitcnt vmcnt(8)
v_lshlrev_b32 v125, 0x8, v125                      // shift left to higher 8 bits
v_or_b32 v[vgprG2LA+4+1], v[vgprG2LA+4+1], v125    // pack a sub 8-bit with dest
s_waitcnt vmcnt(6)
v_lshlrev_b32 v127, 0x8, v127                      // shift left to higher 8 bits
v_or_b32 v[vgprG2LA+4+2], v[vgprG2LA+4+2], v127    // pack a sub 8-bit with dest
s_waitcnt vmcnt(5)
v_or_b32 v[vgprG2LA+4+2], v[vgprG2LA+4+2], v128    // pack a sub 8-bit with dest
s_waitcnt vmcnt(4)
v_lshlrev_b32 v129, 0x8, v129                      // shift left to higher 8 bits
v_or_b32 v[vgprG2LA+4+2], v[vgprG2LA+4+2], v129    // pack a sub 8-bit with dest
s_waitcnt vmcnt(2)
v_lshlrev_b32 v131, 0x8, v131                      // shift left to higher 8 bits
v_or_b32 v[vgprG2LA+4+3], v[vgprG2LA+4+3], v131    // pack a sub 8-bit with dest
s_waitcnt vmcnt(1)
v_or_b32 v[vgprG2LA+4+3], v[vgprG2LA+4+3], v132    // pack a sub 8-bit with dest
s_waitcnt vmcnt(0)
v_lshlrev_b32 v133, 0x8, v133                      // shift left to higher 8 bits
v_or_b32 v[vgprG2LA+4+3], v[vgprG2LA+4+3], v133    // pack a sub 8-bit with dest
/* g2l=8, load component 0 */
_buffer_load_d16_u8 v[vgprG2LA+8+0], v[vgprGlobalReadOffsetA+0], s[sgprSrdA:sgprSrdA+3], s[sgprScalarGlobalReadOffsetA+1], offen offset:0 // load one buffer value
/* g2l=8, load component 1 */
_buffer_load_d16_u8 v119, v[vgprGlobalReadOffsetA+0], s[sgprSrdA:sgprSrdA+3], s[sgprScalarGlobalReadOffsetA+1], offen offset:1 // load one buffer value
/* g2l=8, load component 2 */
_buffer_load_d16_hi_u8 v120, v[vgprGlobalReadOffsetA+0], s[sgprSrdA:sgprSrdA+3], s[sgprScalarGlobalReadOffsetA+1], offen offset:2 // load one buffer value
/* g2l=8, load component 3 */
_buffer_load_d16_hi_u8 v121, v[vgprGlobalReadOffsetA+0], s[sgprSrdA:sgprSrdA+3], s[sgprScalarGlobalReadOffsetA+1], offen offset:3 // load one buffer value
/* g2l=8, load component 4 */
_buffer_load_d16_u8 v[vgprG2LA+8+1], v[vgprGlobalReadOffsetA+0], s[sgprSrdA:sgprSrdA+3], s[sgprScalarGlobalReadOffsetA+1], offen offset:4 // load one buffer value
/* g2l=8, load component 5 */
_buffer_load_d16_u8 v123, v[vgprGlobalReadOffsetA+0], s[sgprSrdA:sgprSrdA+3], s[sgprScalarGlobalReadOffsetA+1], offen offset:5 // load one buffer value
/* g2l=8, load component 6 */
_buffer_load_d16_hi_u8 v124, v[vgprGlobalReadOffsetA+0], s[sgprSrdA:sgprSrdA+3], s[sgprScalarGlobalReadOffsetA+1], offen offset:6 // load one buffer value
/* g2l=8, load component 7 */
_buffer_load_d16_hi_u8 v125, v[vgprGlobalReadOffsetA+0], s[sgprSrdA:sgprSrdA+3], s[sgprScalarGlobalReadOffsetA+1], offen offset:7 // load one buffer value
/* g2l=8, load component 8 */
_buffer_load_d16_u8 v[vgprG2LA+8+2], v[vgprGlobalReadOffsetA+0], s[sgprSrdA:sgprSrdA+3], s[sgprScalarGlobalReadOffsetA+1], offen offset:8 // load one buffer value
/* g2l=8, load component 9 */
_buffer_load_d16_u8 v127, v[vgprGlobalReadOffsetA+0], s[sgprSrdA:sgprSrdA+3], s[sgprScalarGlobalReadOffsetA+1], offen offset:9 // load one buffer value
/* g2l=8, load component 10 */
_buffer_load_d16_hi_u8 v128, v[vgprGlobalReadOffsetA+0], s[sgprSrdA:sgprSrdA+3], s[sgprScalarGlobalReadOffsetA+1], offen offset:10 // load one buffer value
/* g2l=8, load component 11 */
_buffer_load_d16_hi_u8 v129, v[vgprGlobalReadOffsetA+0], s[sgprSrdA:sgprSrdA+3], s[sgprScalarGlobalReadOffsetA+1], offen offset:11 // load one buffer value
/* g2l=8, load component 12 */
_buffer_load_d16_u8 v[vgprG2LA+8+3], v[vgprGlobalReadOffsetA+0], s[sgprSrdA:sgprSrdA+3], s[sgprScalarGlobalReadOffsetA+1], offen offset:12 // load one buffer value
/* g2l=8, load component 13 */
_buffer_load_d16_u8 v131, v[vgprGlobalReadOffsetA+0], s[sgprSrdA:sgprSrdA+3], s[sgprScalarGlobalReadOffsetA+1], offen offset:13 // load one buffer value
/* g2l=8, load component 14 */
_buffer_load_d16_hi_u8 v132, v[vgprGlobalReadOffsetA+0], s[sgprSrdA:sgprSrdA+3], s[sgprScalarGlobalReadOffsetA+1], offen offset:14 // load one buffer value
/* g2l=8, load component 15 */
_buffer_load_d16_hi_u8 v133, v[vgprGlobalReadOffsetA+0], s[sgprSrdA:sgprSrdA+3], s[sgprScalarGlobalReadOffsetA+1], offen offset:15 // load one buffer value
	;; [unrolled: 64-line block ×3, first 2 shown]
s_waitcnt vmcnt(14)
v_lshlrev_b32 v119, 0x8, v119                      // shift left to higher 8 bits
v_or_b32 v[vgprG2LA+12+0], v[vgprG2LA+12+0], v119  // pack a sub 8-bit with dest
s_waitcnt vmcnt(13)
v_or_b32 v[vgprG2LA+12+0], v[vgprG2LA+12+0], v120  // pack a sub 8-bit with dest
s_waitcnt vmcnt(12)
v_lshlrev_b32 v121, 0x8, v121                      // shift left to higher 8 bits
v_or_b32 v[vgprG2LA+12+0], v[vgprG2LA+12+0], v121  // pack a sub 8-bit with dest
s_waitcnt vmcnt(10)
v_lshlrev_b32 v123, 0x8, v123                      // shift left to higher 8 bits
v_or_b32 v[vgprG2LA+12+1], v[vgprG2LA+12+1], v123  // pack a sub 8-bit with dest
s_waitcnt vmcnt(9)
v_or_b32 v[vgprG2LA+12+1], v[vgprG2LA+12+1], v124  // pack a sub 8-bit with dest
s_waitcnt vmcnt(8)
v_lshlrev_b32 v125, 0x8, v125                      // shift left to higher 8 bits
v_or_b32 v[vgprG2LA+12+1], v[vgprG2LA+12+1], v125  // pack a sub 8-bit with dest
	;; [unrolled: 8-line block ×4, first 2 shown]


/* Update M0 for DTLDS */


	;; [unrolled: 1-line block ×3, first 2 shown]
/* global read b */

/* g2l=0, load component 0 */
_buffer_load_d16_u8 v[vgprG2LB+0+0], v[vgprGlobalReadOffsetB+0], s[sgprSrdB:sgprSrdB+3], 0, offen offset:0 // load one buffer value
/* g2l=0, load component 1 */
_buffer_load_d16_u8 v119, v[vgprGlobalReadOffsetB+0], s[sgprSrdB:sgprSrdB+3], 0, offen offset:1 // load one buffer value
/* g2l=0, load component 2 */
_buffer_load_d16_hi_u8 v120, v[vgprGlobalReadOffsetB+0], s[sgprSrdB:sgprSrdB+3], 0, offen offset:2 // load one buffer value
/* g2l=0, load component 3 */
_buffer_load_d16_hi_u8 v121, v[vgprGlobalReadOffsetB+0], s[sgprSrdB:sgprSrdB+3], 0, offen offset:3 // load one buffer value
/* g2l=0, load component 4 */
_buffer_load_d16_u8 v[vgprG2LB+0+1], v[vgprGlobalReadOffsetB+0], s[sgprSrdB:sgprSrdB+3], 0, offen offset:4 // load one buffer value
/* g2l=0, load component 5 */
_buffer_load_d16_u8 v123, v[vgprGlobalReadOffsetB+0], s[sgprSrdB:sgprSrdB+3], 0, offen offset:5 // load one buffer value
/* g2l=0, load component 6 */
_buffer_load_d16_hi_u8 v124, v[vgprGlobalReadOffsetB+0], s[sgprSrdB:sgprSrdB+3], 0, offen offset:6 // load one buffer value
/* g2l=0, load component 7 */
_buffer_load_d16_hi_u8 v125, v[vgprGlobalReadOffsetB+0], s[sgprSrdB:sgprSrdB+3], 0, offen offset:7 // load one buffer value
	;; [unrolled: 8-line block ×4, first 2 shown]
s_waitcnt vmcnt(14)
v_lshlrev_b32 v119, 0x8, v119                      // shift left to higher 8 bits
v_or_b32 v[vgprG2LB+0+0], v[vgprG2LB+0+0], v119    // pack a sub 8-bit with dest
s_waitcnt vmcnt(13)
v_or_b32 v[vgprG2LB+0+0], v[vgprG2LB+0+0], v120    // pack a sub 8-bit with dest
s_waitcnt vmcnt(12)
v_lshlrev_b32 v121, 0x8, v121                      // shift left to higher 8 bits
v_or_b32 v[vgprG2LB+0+0], v[vgprG2LB+0+0], v121    // pack a sub 8-bit with dest
s_waitcnt vmcnt(10)
v_lshlrev_b32 v123, 0x8, v123                      // shift left to higher 8 bits
v_or_b32 v[vgprG2LB+0+1], v[vgprG2LB+0+1], v123    // pack a sub 8-bit with dest
s_waitcnt vmcnt(9)
v_or_b32 v[vgprG2LB+0+1], v[vgprG2LB+0+1], v124    // pack a sub 8-bit with dest
s_waitcnt vmcnt(8)
v_lshlrev_b32 v125, 0x8, v125                      // shift left to higher 8 bits
v_or_b32 v[vgprG2LB+0+1], v[vgprG2LB+0+1], v125    // pack a sub 8-bit with dest
s_waitcnt vmcnt(6)
v_lshlrev_b32 v127, 0x8, v127                      // shift left to higher 8 bits
v_or_b32 v[vgprG2LB+0+2], v[vgprG2LB+0+2], v127    // pack a sub 8-bit with dest
s_waitcnt vmcnt(5)
v_or_b32 v[vgprG2LB+0+2], v[vgprG2LB+0+2], v128    // pack a sub 8-bit with dest
s_waitcnt vmcnt(4)
v_lshlrev_b32 v129, 0x8, v129                      // shift left to higher 8 bits
v_or_b32 v[vgprG2LB+0+2], v[vgprG2LB+0+2], v129    // pack a sub 8-bit with dest
s_waitcnt vmcnt(2)
v_lshlrev_b32 v131, 0x8, v131                      // shift left to higher 8 bits
v_or_b32 v[vgprG2LB+0+3], v[vgprG2LB+0+3], v131    // pack a sub 8-bit with dest
s_waitcnt vmcnt(1)
v_or_b32 v[vgprG2LB+0+3], v[vgprG2LB+0+3], v132    // pack a sub 8-bit with dest
s_waitcnt vmcnt(0)
v_lshlrev_b32 v133, 0x8, v133                      // shift left to higher 8 bits
v_or_b32 v[vgprG2LB+0+3], v[vgprG2LB+0+3], v133    // pack a sub 8-bit with dest
/* g2l=4, load component 0 */
_buffer_load_d16_u8 v[vgprG2LB+4+0], v[vgprGlobalReadOffsetB+0], s[sgprSrdB:sgprSrdB+3], s[sgprScalarGlobalReadOffsetB+0], offen offset:0 // load one buffer value
/* g2l=4, load component 1 */
_buffer_load_d16_u8 v119, v[vgprGlobalReadOffsetB+0], s[sgprSrdB:sgprSrdB+3], s[sgprScalarGlobalReadOffsetB+0], offen offset:1 // load one buffer value
/* g2l=4, load component 2 */
_buffer_load_d16_hi_u8 v120, v[vgprGlobalReadOffsetB+0], s[sgprSrdB:sgprSrdB+3], s[sgprScalarGlobalReadOffsetB+0], offen offset:2 // load one buffer value
/* g2l=4, load component 3 */
_buffer_load_d16_hi_u8 v121, v[vgprGlobalReadOffsetB+0], s[sgprSrdB:sgprSrdB+3], s[sgprScalarGlobalReadOffsetB+0], offen offset:3 // load one buffer value
/* g2l=4, load component 4 */
_buffer_load_d16_u8 v[vgprG2LB+4+1], v[vgprGlobalReadOffsetB+0], s[sgprSrdB:sgprSrdB+3], s[sgprScalarGlobalReadOffsetB+0], offen offset:4 // load one buffer value
/* g2l=4, load component 5 */
_buffer_load_d16_u8 v123, v[vgprGlobalReadOffsetB+0], s[sgprSrdB:sgprSrdB+3], s[sgprScalarGlobalReadOffsetB+0], offen offset:5 // load one buffer value
/* g2l=4, load component 6 */
_buffer_load_d16_hi_u8 v124, v[vgprGlobalReadOffsetB+0], s[sgprSrdB:sgprSrdB+3], s[sgprScalarGlobalReadOffsetB+0], offen offset:6 // load one buffer value
/* g2l=4, load component 7 */
_buffer_load_d16_hi_u8 v125, v[vgprGlobalReadOffsetB+0], s[sgprSrdB:sgprSrdB+3], s[sgprScalarGlobalReadOffsetB+0], offen offset:7 // load one buffer value
/* g2l=4, load component 8 */
_buffer_load_d16_u8 v[vgprG2LB+4+2], v[vgprGlobalReadOffsetB+0], s[sgprSrdB:sgprSrdB+3], s[sgprScalarGlobalReadOffsetB+0], offen offset:8 // load one buffer value
/* g2l=4, load component 9 */
_buffer_load_d16_u8 v127, v[vgprGlobalReadOffsetB+0], s[sgprSrdB:sgprSrdB+3], s[sgprScalarGlobalReadOffsetB+0], offen offset:9 // load one buffer value
/* g2l=4, load component 10 */
_buffer_load_d16_hi_u8 v128, v[vgprGlobalReadOffsetB+0], s[sgprSrdB:sgprSrdB+3], s[sgprScalarGlobalReadOffsetB+0], offen offset:10 // load one buffer value
/* g2l=4, load component 11 */
_buffer_load_d16_hi_u8 v129, v[vgprGlobalReadOffsetB+0], s[sgprSrdB:sgprSrdB+3], s[sgprScalarGlobalReadOffsetB+0], offen offset:11 // load one buffer value
/* g2l=4, load component 12 */
_buffer_load_d16_u8 v[vgprG2LB+4+3], v[vgprGlobalReadOffsetB+0], s[sgprSrdB:sgprSrdB+3], s[sgprScalarGlobalReadOffsetB+0], offen offset:12 // load one buffer value
/* g2l=4, load component 13 */
_buffer_load_d16_u8 v131, v[vgprGlobalReadOffsetB+0], s[sgprSrdB:sgprSrdB+3], s[sgprScalarGlobalReadOffsetB+0], offen offset:13 // load one buffer value
/* g2l=4, load component 14 */
_buffer_load_d16_hi_u8 v132, v[vgprGlobalReadOffsetB+0], s[sgprSrdB:sgprSrdB+3], s[sgprScalarGlobalReadOffsetB+0], offen offset:14 // load one buffer value
/* g2l=4, load component 15 */
_buffer_load_d16_hi_u8 v133, v[vgprGlobalReadOffsetB+0], s[sgprSrdB:sgprSrdB+3], s[sgprScalarGlobalReadOffsetB+0], offen offset:15 // load one buffer value
s_waitcnt vmcnt(14)
v_lshlrev_b32 v119, 0x8, v119                      // shift left to higher 8 bits
v_or_b32 v[vgprG2LB+4+0], v[vgprG2LB+4+0], v119    // pack a sub 8-bit with dest
s_waitcnt vmcnt(13)
v_or_b32 v[vgprG2LB+4+0], v[vgprG2LB+4+0], v120    // pack a sub 8-bit with dest
s_waitcnt vmcnt(12)
v_lshlrev_b32 v121, 0x8, v121                      // shift left to higher 8 bits
v_or_b32 v[vgprG2LB+4+0], v[vgprG2LB+4+0], v121    // pack a sub 8-bit with dest
s_waitcnt vmcnt(10)
v_lshlrev_b32 v123, 0x8, v123                      // shift left to higher 8 bits
v_or_b32 v[vgprG2LB+4+1], v[vgprG2LB+4+1], v123    // pack a sub 8-bit with dest
s_waitcnt vmcnt(9)
v_or_b32 v[vgprG2LB+4+1], v[vgprG2LB+4+1], v124    // pack a sub 8-bit with dest
s_waitcnt vmcnt(8)
v_lshlrev_b32 v125, 0x8, v125                      // shift left to higher 8 bits
v_or_b32 v[vgprG2LB+4+1], v[vgprG2LB+4+1], v125    // pack a sub 8-bit with dest
s_waitcnt vmcnt(6)
v_lshlrev_b32 v127, 0x8, v127                      // shift left to higher 8 bits
v_or_b32 v[vgprG2LB+4+2], v[vgprG2LB+4+2], v127    // pack a sub 8-bit with dest
s_waitcnt vmcnt(5)
v_or_b32 v[vgprG2LB+4+2], v[vgprG2LB+4+2], v128    // pack a sub 8-bit with dest
s_waitcnt vmcnt(4)
v_lshlrev_b32 v129, 0x8, v129                      // shift left to higher 8 bits
v_or_b32 v[vgprG2LB+4+2], v[vgprG2LB+4+2], v129    // pack a sub 8-bit with dest
s_waitcnt vmcnt(2)
v_lshlrev_b32 v131, 0x8, v131                      // shift left to higher 8 bits
v_or_b32 v[vgprG2LB+4+3], v[vgprG2LB+4+3], v131    // pack a sub 8-bit with dest
s_waitcnt vmcnt(1)
v_or_b32 v[vgprG2LB+4+3], v[vgprG2LB+4+3], v132    // pack a sub 8-bit with dest
s_waitcnt vmcnt(0)
v_lshlrev_b32 v133, 0x8, v133                      // shift left to higher 8 bits
v_or_b32 v[vgprG2LB+4+3], v[vgprG2LB+4+3], v133    // pack a sub 8-bit with dest
/* g2l=8, load component 0 */
_buffer_load_d16_u8 v[vgprG2LB+8+0], v[vgprGlobalReadOffsetB+0], s[sgprSrdB:sgprSrdB+3], s[sgprScalarGlobalReadOffsetB+1], offen offset:0 // load one buffer value
/* g2l=8, load component 1 */
_buffer_load_d16_u8 v119, v[vgprGlobalReadOffsetB+0], s[sgprSrdB:sgprSrdB+3], s[sgprScalarGlobalReadOffsetB+1], offen offset:1 // load one buffer value
/* g2l=8, load component 2 */
_buffer_load_d16_hi_u8 v120, v[vgprGlobalReadOffsetB+0], s[sgprSrdB:sgprSrdB+3], s[sgprScalarGlobalReadOffsetB+1], offen offset:2 // load one buffer value
/* g2l=8, load component 3 */
_buffer_load_d16_hi_u8 v121, v[vgprGlobalReadOffsetB+0], s[sgprSrdB:sgprSrdB+3], s[sgprScalarGlobalReadOffsetB+1], offen offset:3 // load one buffer value
/* g2l=8, load component 4 */
_buffer_load_d16_u8 v[vgprG2LB+8+1], v[vgprGlobalReadOffsetB+0], s[sgprSrdB:sgprSrdB+3], s[sgprScalarGlobalReadOffsetB+1], offen offset:4 // load one buffer value
/* g2l=8, load component 5 */
_buffer_load_d16_u8 v123, v[vgprGlobalReadOffsetB+0], s[sgprSrdB:sgprSrdB+3], s[sgprScalarGlobalReadOffsetB+1], offen offset:5 // load one buffer value
/* g2l=8, load component 6 */
_buffer_load_d16_hi_u8 v124, v[vgprGlobalReadOffsetB+0], s[sgprSrdB:sgprSrdB+3], s[sgprScalarGlobalReadOffsetB+1], offen offset:6 // load one buffer value
/* g2l=8, load component 7 */
_buffer_load_d16_hi_u8 v125, v[vgprGlobalReadOffsetB+0], s[sgprSrdB:sgprSrdB+3], s[sgprScalarGlobalReadOffsetB+1], offen offset:7 // load one buffer value
/* g2l=8, load component 8 */
_buffer_load_d16_u8 v[vgprG2LB+8+2], v[vgprGlobalReadOffsetB+0], s[sgprSrdB:sgprSrdB+3], s[sgprScalarGlobalReadOffsetB+1], offen offset:8 // load one buffer value
/* g2l=8, load component 9 */
_buffer_load_d16_u8 v127, v[vgprGlobalReadOffsetB+0], s[sgprSrdB:sgprSrdB+3], s[sgprScalarGlobalReadOffsetB+1], offen offset:9 // load one buffer value
/* g2l=8, load component 10 */
_buffer_load_d16_hi_u8 v128, v[vgprGlobalReadOffsetB+0], s[sgprSrdB:sgprSrdB+3], s[sgprScalarGlobalReadOffsetB+1], offen offset:10 // load one buffer value
/* g2l=8, load component 11 */
_buffer_load_d16_hi_u8 v129, v[vgprGlobalReadOffsetB+0], s[sgprSrdB:sgprSrdB+3], s[sgprScalarGlobalReadOffsetB+1], offen offset:11 // load one buffer value
/* g2l=8, load component 12 */
_buffer_load_d16_u8 v[vgprG2LB+8+3], v[vgprGlobalReadOffsetB+0], s[sgprSrdB:sgprSrdB+3], s[sgprScalarGlobalReadOffsetB+1], offen offset:12 // load one buffer value
/* g2l=8, load component 13 */
_buffer_load_d16_u8 v131, v[vgprGlobalReadOffsetB+0], s[sgprSrdB:sgprSrdB+3], s[sgprScalarGlobalReadOffsetB+1], offen offset:13 // load one buffer value
/* g2l=8, load component 14 */
_buffer_load_d16_hi_u8 v132, v[vgprGlobalReadOffsetB+0], s[sgprSrdB:sgprSrdB+3], s[sgprScalarGlobalReadOffsetB+1], offen offset:14 // load one buffer value
/* g2l=8, load component 15 */
_buffer_load_d16_hi_u8 v133, v[vgprGlobalReadOffsetB+0], s[sgprSrdB:sgprSrdB+3], s[sgprScalarGlobalReadOffsetB+1], offen offset:15 // load one buffer value
	;; [unrolled: 64-line block ×3, first 2 shown]
s_waitcnt vmcnt(14)
v_lshlrev_b32 v119, 0x8, v119                      // shift left to higher 8 bits
v_or_b32 v[vgprG2LB+12+0], v[vgprG2LB+12+0], v119  // pack a sub 8-bit with dest
s_waitcnt vmcnt(13)
v_or_b32 v[vgprG2LB+12+0], v[vgprG2LB+12+0], v120  // pack a sub 8-bit with dest
s_waitcnt vmcnt(12)
v_lshlrev_b32 v121, 0x8, v121                      // shift left to higher 8 bits
v_or_b32 v[vgprG2LB+12+0], v[vgprG2LB+12+0], v121  // pack a sub 8-bit with dest
s_waitcnt vmcnt(10)
v_lshlrev_b32 v123, 0x8, v123                      // shift left to higher 8 bits
v_or_b32 v[vgprG2LB+12+1], v[vgprG2LB+12+1], v123  // pack a sub 8-bit with dest
s_waitcnt vmcnt(9)
v_or_b32 v[vgprG2LB+12+1], v[vgprG2LB+12+1], v124  // pack a sub 8-bit with dest
s_waitcnt vmcnt(8)
v_lshlrev_b32 v125, 0x8, v125                      // shift left to higher 8 bits
v_or_b32 v[vgprG2LB+12+1], v[vgprG2LB+12+1], v125  // pack a sub 8-bit with dest
	;; [unrolled: 8-line block ×4, first 2 shown]

s_waitcnt vmcnt(0)                                 // lgkmcnt=-1 vmcnt=02wait for global read

// Skip force waitcnt0
s_barrier //


/* Done global A/B reads */


	;; [unrolled: 1-line block ×4, first 2 shown]
/* local write a */

_ds_store_b128 v[vgprLocalWriteAddrA], v[vgprG2LA+0:vgprG2LA+0+3] offset:0 // lwoA_0_0_0_0 = (0*LSCA)*(MT0I+PAD) + (0*LSPA) = 0
_ds_store_b128 v[vgprLocalWriteAddrA], v[vgprG2LA+4:vgprG2LA+4+3] offset:4608 // lwoA_0_0_1_0 = (0*LSCA)*(MT0I+PAD) + (1*LSPA) = 4608
_ds_store_b128 v[vgprLocalWriteAddrA], v[vgprG2LA+8:vgprG2LA+8+3] offset:9216 // lwoA_0_0_2_0 = (0*LSCA)*(MT0I+PAD) + (2*LSPA) = 9216
_ds_store_b128 v[vgprLocalWriteAddrA], v[vgprG2LA+12:vgprG2LA+12+3] offset:13824 // lwoA_0_0_3_0 = (0*LSCA)*(MT0I+PAD) + (3*LSPA) = 13824


/* local write b */

_ds_store_b128 v[vgprLocalWriteAddrB], v[vgprG2LB+0:vgprG2LB+0+3] offset:0 // lwoB_0_0_0_0 = (0*LSCB)*(MT1J+PAD) + (0*LSPB) = 0
_ds_store_b128 v[vgprLocalWriteAddrB], v[vgprG2LB+4:vgprG2LB+4+3] offset:4608 // lwoB_0_0_1_0 = (0*LSCB)*(MT1J+PAD) + (1*LSPB) = 4608
_ds_store_b128 v[vgprLocalWriteAddrB], v[vgprG2LB+8:vgprG2LB+8+3] offset:9216 // lwoB_0_0_2_0 = (0*LSCB)*(MT1J+PAD) + (2*LSPB) = 9216
_ds_store_b128 v[vgprLocalWriteAddrB], v[vgprG2LB+12:vgprG2LB+12+3] offset:13824 // lwoB_0_0_3_0 = (0*LSCB)*(MT1J+PAD) + (3*LSPB) = 13824


/* Recalc local read offsets */

/*lr0I*/
v_and_b32 v120, 63, v[vgprSerial]                  // 0. thread id in wave: wtid = tid % wavelength(64)
v_and_b32 v119, 31, v120                           // 1. N offset: nIdx = wtid % MI_N(32)
v_lshlrev_b32 v119, 0x6, v119                      // 1. N offset: nOffset = nIdx * nStride(64)
                                                   // 2. block offset: bnIdx = bnIdx % num1DBlocks(1) is 0. do nothing
v_lshlrev_b32 v119, 0x1, v119                      // 4. apply VectorWidth: bnOffset = bnOffset * vw(2)
v_lshrrev_b32 v120, 5, v120                        // 5. K offset: kIdx = wtid / (MIN(32) * MIBB(1))
v_lshlrev_b32 v120, 0x3, v120                      // 5. K offset: lrKOffset = kIdx * mStride(8)
_v_add_u32 v119, v120, v119                        // 6. offset in wave: lrOffset = bnOffset + lrKOffset
v_lshrrev_b32 v121, 6, v[vgprSerial]               // 7. wave offset in N dimen: wtid = tid / dividedForWaveId(64)
v_and_b32 v120, 3, v121                            // 7. wave offset in M dimen: wtid0 = wtid / num1DWaves(4)
v_lshlrev_b32 v120, 0xc, v120                      // 7. wave offset in M dimen: wOffset = wtid0 * W0Stride(4096)
_v_add_u32 v119, v120, v119                        // 8. final local read offset: flrOffset = lrOffset + WOffset
/*lr1J*/
v_and_b32 v121, 63, v[vgprSerial]                  // 0. thread id in wave: wtid = tid % wavelength(64)
v_and_b32 v120, 31, v121                           // 1. N offset: nIdx = wtid % MI_N(32)
v_lshlrev_b32 v120, 0x6, v120                      // 1. N offset: nOffset = nIdx * nStride(64)
                                                   // 2. block offset: bnIdx = bnIdx % num1DBlocks(1) is 0. do nothing
v_lshlrev_b32 v120, 0x2, v120                      // 4. apply VectorWidth: bnOffset = bnOffset * vw(4)
v_lshrrev_b32 v121, 5, v121                        // 5. K offset: kIdx = wtid / (MIN(32) * MIBB(1))
v_lshlrev_b32 v121, 0x3, v121                      // 5. K offset: lrKOffset = kIdx * mStride(8)
_v_add_u32 v120, v121, v120                        // 6. offset in wave: lrOffset = bnOffset + lrKOffset
v_lshlrev_b32 v[vgprLocalReadAddrA], 0x0, v119     // Final Offset: offset = (lro0)*bpe
v_lshrrev_b32 v119, 7, v[vgprLocalReadAddrA]       // Final Offset: padding 16 per block 128
v_lshlrev_b32 v119, 0x4, v119                      // Final Offset: padding 16 per block 128
_v_add_u32 v[vgprLocalReadAddrA], v119, v[vgprLocalReadAddrA] // Final Offset: add padding 16 per block 128
/* N/A */
v_lshlrev_b32 v[vgprLocalReadAddrB], 0x0, v120     // Final Offset: offset = (lro1)*bpe
v_lshrrev_b32 v119, 7, v[vgprLocalReadAddrB]       // Final Offset: padding 16 per block 128
v_lshlrev_b32 v119, 0x4, v119                      // Final Offset: padding 16 per block 128
_v_add_u32 v[vgprLocalReadAddrB], v119, v[vgprLocalReadAddrB] // Final Offset: add padding 16 per block 128
_v_add_co_u32 v[vgprLocalReadAddrB+0], vcc, 0x4800, v[vgprLocalReadAddrB+0] //  += LdsOffsetB (lower)

s_waitcnt lgkmcnt(0)                               // lgkmcnt=0 vmcnt=-15wait for local write

// Skip force waitcnt0
s_barrier //


/* local read reset offsets a */


	;; [unrolled: 1-line block ×3, first 2 shown]
/* local read reset offsets b */


	;; [unrolled: 1-line block ×3, first 2 shown]
/* local read init pointers a */


/* localReadInitPointers */


/* local read init pointers b */


/* localReadInitPointers */


/* tail loop: macs */

TailLoopBeginL_6:


/* tail loop unroll iter 0 */


/* local read a */

_ds_load_b64 v[vgprValuA_X0_I0+0:vgprValuA_X0_I0+0+1], v[vgprLocalReadAddrA] offset:0 // L -> Reg lro=0 swapByteOffset=0 ti=256 vIdx=0 rIdx=0 oIdx=0 buffer=0 iui=0
_ds_load_b64 v[vgprValuA_X0_I0+2:vgprValuA_X0_I0+2+1], v[vgprLocalReadAddrA] offset:64 // L -> Reg lro=0 swapByteOffset=0 ti=256 vIdx=0 rIdx=0 oIdx=0 buffer=0 iui=0


/* local read b */

_ds_load_b64 v[vgprValuB_X0_I0+0:vgprValuB_X0_I0+0+1], v[vgprLocalReadAddrB] offset:0 // L -> Reg lro=0 swapByteOffset=0 ti=128 vIdx=0 rIdx=0 oIdx=0 buffer=0 iui=0
_ds_load_b64 v[vgprValuB_X0_I0+2:vgprValuB_X0_I0+2+1], v[vgprLocalReadAddrB] offset:64 // L -> Reg lro=0 swapByteOffset=0 ti=128 vIdx=0 rIdx=0 oIdx=0 buffer=0 iui=0
	;; [unrolled: 1-line block ×8, first 2 shown]


/* local read inc a */

s_mov_b32 s56, 0x10                                // inc
_v_add_co_u32 v[vgprLocalReadAddrA], vcc, s56, v[vgprLocalReadAddrA] // lrA += 16 (LSU*bpe)


/* local read inc b */

s_mov_b32 s56, 0x10                                // inc
_v_add_co_u32 v[vgprLocalReadAddrB], vcc, s56, v[vgprLocalReadAddrB] // lrB += 16 (LSU*bpe)

s_waitcnt lgkmcnt(0)                               // lgkmcnt=0 vmcnt=-14wait for local read


	;; [unrolled: 1-line block ×3, first 2 shown]
/* tail loop mfma iter 0: numReadsIterCoalescedA=1, numReadsIterCoalescedB=1 */
v_and_b32 v119, 63, v[vgprSerial]                  // v119 = v[vgprSerial] % 64
v_lshrrev_b32 v119, 5, v119                        // v119 = v119 / 32
v_lshlrev_b32 v119, 0x3, v119                      // v119 = v119 * 8
v_cmp_ge_i32 s[64:65], v119, s[sgprLoopCounterL]   // check K index >= Size L
v_cndmask_b32 v[vgprValuA_X0_I0+0+0+0+0], v[vgprValuA_X0_I0+0+0+0+0], 0x0, s[64:65] // set 0 if K_idx >= sizeL
v_cndmask_b32 v[vgprValuA_X0_I0+2+0+0+0], v[vgprValuA_X0_I0+2+0+0+0], 0x0, s[64:65] // set 0 if K_idx >= sizeL
v_cndmask_b32 v[vgprValuB_X0_I0+0+0+0+0], v[vgprValuB_X0_I0+0+0+0+0], 0x0, s[64:65] // set 0 if K_idx >= sizeL
v_cndmask_b32 v[vgprValuB_X0_I0+2+0+0+0], v[vgprValuB_X0_I0+2+0+0+0], 0x0, s[64:65] // set 0 if K_idx >= sizeL
	;; [unrolled: 1-line block ×8, first 2 shown]
v_cndmask_b32 v[vgprValuA_X0_I0+0+0+0+1], v[vgprValuA_X0_I0+0+0+0+1], 0x0, s[64:65] // set 0 if K_idx >= sizeL
v_cndmask_b32 v[vgprValuA_X0_I0+2+0+0+1], v[vgprValuA_X0_I0+2+0+0+1], 0x0, s[64:65] // set 0 if K_idx >= sizeL
v_cndmask_b32 v[vgprValuB_X0_I0+0+0+0+1], v[vgprValuB_X0_I0+0+0+0+1], 0x0, s[64:65] // set 0 if K_idx >= sizeL
v_cndmask_b32 v[vgprValuB_X0_I0+2+0+0+1], v[vgprValuB_X0_I0+2+0+0+1], 0x0, s[64:65] // set 0 if K_idx >= sizeL
	;; [unrolled: 1-line block ×8, first 2 shown]
_v_sub_u32 v119, s[sgprLoopCounterL], v119         // get distance between size and k index
v_cmp_lt_i32 s[64:65], v119, 8                     // set partial 0 if distance less than input per thread
s_and_b32 s66, s[sgprLoopCounterL], 7              // get inputs for edge thread
s_sub_u32 s66, 8, s66                              // use shift to fill 0 for outside element
s_lshl_b32 s66, s66, 3                             // use shift to fill 0 for outside element
v_mov_b32 v120, -1                                 // set 0xffffffff
v_mov_b32 v121, -1                                 // set 0xffffffff
v_lshrrev_b64 v[120:121], s66, v[120:121]          // rshift mask for partial k
v_cndmask_b32 v120, -1, v120, s[64:65]             // select shifted mask for partial k
v_cndmask_b32 v121, -1, v121, s[64:65]             // select shifted mask for partial k
v_and_b32 v[vgprValuA_X0_I0+0+0+0+0], v[vgprValuA_X0_I0+0+0+0+0], v120 // 
v_and_b32 v[vgprValuA_X0_I0+0+0+0+1], v[vgprValuA_X0_I0+0+0+0+1], v121 // 
v_and_b32 v[vgprValuA_X0_I0+2+0+0+0], v[vgprValuA_X0_I0+2+0+0+0], v120 // 
v_and_b32 v[vgprValuA_X0_I0+2+0+0+1], v[vgprValuA_X0_I0+2+0+0+1], v121 // 
v_and_b32 v[vgprValuB_X0_I0+0+0+0+0], v[vgprValuB_X0_I0+0+0+0+0], v120 // 
v_and_b32 v[vgprValuB_X0_I0+0+0+0+1], v[vgprValuB_X0_I0+0+0+0+1], v121 // 
	;; [unrolled: 1-line block ×16, first 2 shown]
s_nop 1
v_mfma_f32_32x32x16_fp8_fp8 a[0+0:15+0], v[vgprValuB_X0_I0+0+0+0:vgprValuB_X0_I0+0+0+0+1], v[vgprValuA_X0_I0+0+0+0:vgprValuA_X0_I0+0+0+0+1], a[0:15]
v_mfma_f32_32x32x16_fp8_fp8 a[16+0:31+0], v[vgprValuB_X0_I0+0+0+0:vgprValuB_X0_I0+0+0+0+1], v[vgprValuA_X0_I0+2+0+0:vgprValuA_X0_I0+2+0+0+1], a[16:31]
	;; [unrolled: 1-line block ×16, first 2 shown]


/* closeLoop loopL finalLoop=0 tailLoop=1 */
s_sub_i32 s[sgprLoopCounterL], s[sgprLoopCounterL], 0x10 // dec counterL (tailLoop)
s_add_u32 s[sgprOrigLoopCounter], s[sgprOrigLoopCounter], 0x10 // inc counterL
s_cmp_le_i32 s[sgprLoopCounterL], 0x0              // counterL<=0
s_cbranch_scc1 TailLoopEndL_7                      // exit LoopL


/* tail loop unroll iter 1 */


/* local read a */

_ds_load_b64 v[vgprValuA_X1_I0+0:vgprValuA_X1_I0+0+1], v[vgprLocalReadAddrA] offset:0 // L -> Reg lro=0 swapByteOffset=0 ti=256 vIdx=0 rIdx=0 oIdx=0 buffer=1 iui=0
_ds_load_b64 v[vgprValuA_X1_I0+2:vgprValuA_X1_I0+2+1], v[vgprLocalReadAddrA] offset:64 // L -> Reg lro=0 swapByteOffset=0 ti=256 vIdx=0 rIdx=0 oIdx=0 buffer=1 iui=0


/* local read b */

_ds_load_b64 v[vgprValuB_X1_I0+0:vgprValuB_X1_I0+0+1], v[vgprLocalReadAddrB] offset:0 // L -> Reg lro=0 swapByteOffset=0 ti=128 vIdx=0 rIdx=0 oIdx=0 buffer=1 iui=0
_ds_load_b64 v[vgprValuB_X1_I0+2:vgprValuB_X1_I0+2+1], v[vgprLocalReadAddrB] offset:64 // L -> Reg lro=0 swapByteOffset=0 ti=128 vIdx=0 rIdx=0 oIdx=0 buffer=1 iui=0
	;; [unrolled: 1-line block ×8, first 2 shown]


/* local read inc a */

s_mov_b32 s56, 0x10                                // inc
_v_add_co_u32 v[vgprLocalReadAddrA], vcc, s56, v[vgprLocalReadAddrA] // lrA += 16 (LSU*bpe)


/* local read inc b */

s_mov_b32 s56, 0x10                                // inc
_v_add_co_u32 v[vgprLocalReadAddrB], vcc, s56, v[vgprLocalReadAddrB] // lrB += 16 (LSU*bpe)

s_waitcnt lgkmcnt(0)                               // lgkmcnt=0 vmcnt=-14wait for local read


	;; [unrolled: 1-line block ×3, first 2 shown]
/* tail loop mfma iter 1: numReadsIterCoalescedA=1, numReadsIterCoalescedB=1 */
v_and_b32 v119, 63, v[vgprSerial]                  // v119 = v[vgprSerial] % 64
v_lshrrev_b32 v119, 5, v119                        // v119 = v119 / 32
v_lshlrev_b32 v119, 0x3, v119                      // v119 = v119 * 8
v_cmp_ge_i32 s[64:65], v119, s[sgprLoopCounterL]   // check K index >= Size L
v_cndmask_b32 v[vgprValuA_X1_I0+0+0+0+0], v[vgprValuA_X1_I0+0+0+0+0], 0x0, s[64:65] // set 0 if K_idx >= sizeL
v_cndmask_b32 v[vgprValuA_X1_I0+2+0+0+0], v[vgprValuA_X1_I0+2+0+0+0], 0x0, s[64:65] // set 0 if K_idx >= sizeL
v_cndmask_b32 v[vgprValuB_X1_I0+0+0+0+0], v[vgprValuB_X1_I0+0+0+0+0], 0x0, s[64:65] // set 0 if K_idx >= sizeL
v_cndmask_b32 v[vgprValuB_X1_I0+2+0+0+0], v[vgprValuB_X1_I0+2+0+0+0], 0x0, s[64:65] // set 0 if K_idx >= sizeL
	;; [unrolled: 1-line block ×8, first 2 shown]
v_cndmask_b32 v[vgprValuA_X1_I0+0+0+0+1], v[vgprValuA_X1_I0+0+0+0+1], 0x0, s[64:65] // set 0 if K_idx >= sizeL
v_cndmask_b32 v[vgprValuA_X1_I0+2+0+0+1], v[vgprValuA_X1_I0+2+0+0+1], 0x0, s[64:65] // set 0 if K_idx >= sizeL
v_cndmask_b32 v[vgprValuB_X1_I0+0+0+0+1], v[vgprValuB_X1_I0+0+0+0+1], 0x0, s[64:65] // set 0 if K_idx >= sizeL
v_cndmask_b32 v[vgprValuB_X1_I0+2+0+0+1], v[vgprValuB_X1_I0+2+0+0+1], 0x0, s[64:65] // set 0 if K_idx >= sizeL
	;; [unrolled: 1-line block ×8, first 2 shown]
_v_sub_u32 v119, s[sgprLoopCounterL], v119         // get distance between size and k index
v_cmp_lt_i32 s[64:65], v119, 8                     // set partial 0 if distance less than input per thread
s_and_b32 s66, s[sgprLoopCounterL], 7              // get inputs for edge thread
s_sub_u32 s66, 8, s66                              // use shift to fill 0 for outside element
s_lshl_b32 s66, s66, 3                             // use shift to fill 0 for outside element
v_mov_b32 v120, -1                                 // set 0xffffffff
v_mov_b32 v121, -1                                 // set 0xffffffff
v_lshrrev_b64 v[120:121], s66, v[120:121]          // rshift mask for partial k
v_cndmask_b32 v120, -1, v120, s[64:65]             // select shifted mask for partial k
v_cndmask_b32 v121, -1, v121, s[64:65]             // select shifted mask for partial k
v_and_b32 v[vgprValuA_X1_I0+0+0+0+0], v[vgprValuA_X1_I0+0+0+0+0], v120 // 
v_and_b32 v[vgprValuA_X1_I0+0+0+0+1], v[vgprValuA_X1_I0+0+0+0+1], v121 // 
	;; [unrolled: 1-line block ×4, first 2 shown]
v_and_b32 v[vgprValuB_X1_I0+0+0+0+0], v[vgprValuB_X1_I0+0+0+0+0], v120 // 
v_and_b32 v[vgprValuB_X1_I0+0+0+0+1], v[vgprValuB_X1_I0+0+0+0+1], v121 // 
	;; [unrolled: 1-line block ×16, first 2 shown]
s_nop 1
v_mfma_f32_32x32x16_fp8_fp8 a[0+0:15+0], v[vgprValuB_X1_I0+0+0+0:vgprValuB_X1_I0+0+0+0+1], v[vgprValuA_X1_I0+0+0+0:vgprValuA_X1_I0+0+0+0+1], a[0:15]
v_mfma_f32_32x32x16_fp8_fp8 a[16+0:31+0], v[vgprValuB_X1_I0+0+0+0:vgprValuB_X1_I0+0+0+0+1], v[vgprValuA_X1_I0+2+0+0:vgprValuA_X1_I0+2+0+0+1], a[16:31]
	;; [unrolled: 1-line block ×16, first 2 shown]


/* closeLoop loopL finalLoop=0 tailLoop=1 */
s_sub_i32 s[sgprLoopCounterL], s[sgprLoopCounterL], 0x10 // dec counterL (tailLoop)
s_add_u32 s[sgprOrigLoopCounter], s[sgprOrigLoopCounter], 0x10 // inc counterL
s_cmp_le_i32 s[sgprLoopCounterL], 0x0              // counterL<=0
s_cbranch_scc1 TailLoopEndL_7                      // exit LoopL


/* tail loop unroll iter 2 */


/* local read a */

_ds_load_b64 v[vgprValuA_X2_I0+0:vgprValuA_X2_I0+0+1], v[vgprLocalReadAddrA] offset:0 // L -> Reg lro=0 swapByteOffset=0 ti=256 vIdx=0 rIdx=0 oIdx=0 buffer=2 iui=0
_ds_load_b64 v[vgprValuA_X2_I0+2:vgprValuA_X2_I0+2+1], v[vgprLocalReadAddrA] offset:64 // L -> Reg lro=0 swapByteOffset=0 ti=256 vIdx=0 rIdx=0 oIdx=0 buffer=2 iui=0


/* local read b */

_ds_load_b64 v[vgprValuB_X2_I0+0:vgprValuB_X2_I0+0+1], v[vgprLocalReadAddrB] offset:0 // L -> Reg lro=0 swapByteOffset=0 ti=128 vIdx=0 rIdx=0 oIdx=0 buffer=2 iui=0
_ds_load_b64 v[vgprValuB_X2_I0+2:vgprValuB_X2_I0+2+1], v[vgprLocalReadAddrB] offset:64 // L -> Reg lro=0 swapByteOffset=0 ti=128 vIdx=0 rIdx=0 oIdx=0 buffer=2 iui=0
	;; [unrolled: 1-line block ×8, first 2 shown]


/* local read inc a */

s_mov_b32 s56, 0x10                                // inc
_v_add_co_u32 v[vgprLocalReadAddrA], vcc, s56, v[vgprLocalReadAddrA] // lrA += 16 (LSU*bpe)


/* local read inc b */

s_mov_b32 s56, 0x10                                // inc
_v_add_co_u32 v[vgprLocalReadAddrB], vcc, s56, v[vgprLocalReadAddrB] // lrB += 16 (LSU*bpe)

s_waitcnt lgkmcnt(0)                               // lgkmcnt=0 vmcnt=-14wait for local read


	;; [unrolled: 1-line block ×3, first 2 shown]
/* tail loop mfma iter 2: numReadsIterCoalescedA=1, numReadsIterCoalescedB=1 */
v_and_b32 v119, 63, v[vgprSerial]                  // v119 = v[vgprSerial] % 64
v_lshrrev_b32 v119, 5, v119                        // v119 = v119 / 32
v_lshlrev_b32 v119, 0x3, v119                      // v119 = v119 * 8
v_cmp_ge_i32 s[64:65], v119, s[sgprLoopCounterL]   // check K index >= Size L
v_cndmask_b32 v[vgprValuA_X2_I0+0+0+0+0], v[vgprValuA_X2_I0+0+0+0+0], 0x0, s[64:65] // set 0 if K_idx >= sizeL
v_cndmask_b32 v[vgprValuA_X2_I0+2+0+0+0], v[vgprValuA_X2_I0+2+0+0+0], 0x0, s[64:65] // set 0 if K_idx >= sizeL
v_cndmask_b32 v[vgprValuB_X2_I0+0+0+0+0], v[vgprValuB_X2_I0+0+0+0+0], 0x0, s[64:65] // set 0 if K_idx >= sizeL
v_cndmask_b32 v[vgprValuB_X2_I0+2+0+0+0], v[vgprValuB_X2_I0+2+0+0+0], 0x0, s[64:65] // set 0 if K_idx >= sizeL
	;; [unrolled: 1-line block ×8, first 2 shown]
v_cndmask_b32 v[vgprValuA_X2_I0+0+0+0+1], v[vgprValuA_X2_I0+0+0+0+1], 0x0, s[64:65] // set 0 if K_idx >= sizeL
v_cndmask_b32 v[vgprValuA_X2_I0+2+0+0+1], v[vgprValuA_X2_I0+2+0+0+1], 0x0, s[64:65] // set 0 if K_idx >= sizeL
v_cndmask_b32 v[vgprValuB_X2_I0+0+0+0+1], v[vgprValuB_X2_I0+0+0+0+1], 0x0, s[64:65] // set 0 if K_idx >= sizeL
v_cndmask_b32 v[vgprValuB_X2_I0+2+0+0+1], v[vgprValuB_X2_I0+2+0+0+1], 0x0, s[64:65] // set 0 if K_idx >= sizeL
	;; [unrolled: 1-line block ×8, first 2 shown]
_v_sub_u32 v119, s[sgprLoopCounterL], v119         // get distance between size and k index
v_cmp_lt_i32 s[64:65], v119, 8                     // set partial 0 if distance less than input per thread
s_and_b32 s66, s[sgprLoopCounterL], 7              // get inputs for edge thread
s_sub_u32 s66, 8, s66                              // use shift to fill 0 for outside element
s_lshl_b32 s66, s66, 3                             // use shift to fill 0 for outside element
v_mov_b32 v120, -1                                 // set 0xffffffff
v_mov_b32 v121, -1                                 // set 0xffffffff
v_lshrrev_b64 v[120:121], s66, v[120:121]          // rshift mask for partial k
v_cndmask_b32 v120, -1, v120, s[64:65]             // select shifted mask for partial k
v_cndmask_b32 v121, -1, v121, s[64:65]             // select shifted mask for partial k
v_and_b32 v[vgprValuA_X2_I0+0+0+0+0], v[vgprValuA_X2_I0+0+0+0+0], v120 // 
v_and_b32 v[vgprValuA_X2_I0+0+0+0+1], v[vgprValuA_X2_I0+0+0+0+1], v121 // 
	;; [unrolled: 1-line block ×4, first 2 shown]
v_and_b32 v[vgprValuB_X2_I0+0+0+0+0], v[vgprValuB_X2_I0+0+0+0+0], v120 // 
v_and_b32 v[vgprValuB_X2_I0+0+0+0+1], v[vgprValuB_X2_I0+0+0+0+1], v121 // 
v_and_b32 v[vgprValuB_X2_I0+2+0+0+0], v[vgprValuB_X2_I0+2+0+0+0], v120 // 
v_and_b32 v[vgprValuB_X2_I0+2+0+0+1], v[vgprValuB_X2_I0+2+0+0+1], v121 // 
v_and_b32 v[vgprValuB_X2_I0+4+0+0+0], v[vgprValuB_X2_I0+4+0+0+0], v120 // 
v_and_b32 v[vgprValuB_X2_I0+4+0+0+1], v[vgprValuB_X2_I0+4+0+0+1], v121 // 
v_and_b32 v[vgprValuB_X2_I0+6+0+0+0], v[vgprValuB_X2_I0+6+0+0+0], v120 // 
v_and_b32 v[vgprValuB_X2_I0+6+0+0+1], v[vgprValuB_X2_I0+6+0+0+1], v121 // 
v_and_b32 v[vgprValuB_X2_I0+8+0+0+0], v[vgprValuB_X2_I0+8+0+0+0], v120 // 
v_and_b32 v[vgprValuB_X2_I0+8+0+0+1], v[vgprValuB_X2_I0+8+0+0+1], v121 // 
v_and_b32 v[vgprValuB_X2_I0+10+0+0+0], v[vgprValuB_X2_I0+10+0+0+0], v120 // 
v_and_b32 v[vgprValuB_X2_I0+10+0+0+1], v[vgprValuB_X2_I0+10+0+0+1], v121 // 
v_and_b32 v[vgprValuB_X2_I0+12+0+0+0], v[vgprValuB_X2_I0+12+0+0+0], v120 // 
v_and_b32 v[vgprValuB_X2_I0+12+0+0+1], v[vgprValuB_X2_I0+12+0+0+1], v121 // 
v_and_b32 v[vgprValuB_X2_I0+14+0+0+0], v[vgprValuB_X2_I0+14+0+0+0], v120 // 
v_and_b32 v[vgprValuB_X2_I0+14+0+0+1], v[vgprValuB_X2_I0+14+0+0+1], v121 // 
s_nop 1
v_mfma_f32_32x32x16_fp8_fp8 a[0+0:15+0], v[vgprValuB_X2_I0+0+0+0:vgprValuB_X2_I0+0+0+0+1], v[vgprValuA_X2_I0+0+0+0:vgprValuA_X2_I0+0+0+0+1], a[0:15]
v_mfma_f32_32x32x16_fp8_fp8 a[16+0:31+0], v[vgprValuB_X2_I0+0+0+0:vgprValuB_X2_I0+0+0+0+1], v[vgprValuA_X2_I0+2+0+0:vgprValuA_X2_I0+2+0+0+1], a[16:31]
	;; [unrolled: 1-line block ×16, first 2 shown]


/* closeLoop loopL finalLoop=0 tailLoop=1 */
s_sub_i32 s[sgprLoopCounterL], s[sgprLoopCounterL], 0x10 // dec counterL (tailLoop)
s_add_u32 s[sgprOrigLoopCounter], s[sgprOrigLoopCounter], 0x10 // inc counterL
s_cmp_le_i32 s[sgprLoopCounterL], 0x0              // counterL<=0
s_cbranch_scc1 TailLoopEndL_7                      // exit LoopL


/* tail loop unroll iter 3 */


/* local read a */

_ds_load_b64 v[vgprValuA_X3_I0+0:vgprValuA_X3_I0+0+1], v[vgprLocalReadAddrA] offset:0 // L -> Reg lro=0 swapByteOffset=0 ti=256 vIdx=0 rIdx=0 oIdx=0 buffer=3 iui=0
_ds_load_b64 v[vgprValuA_X3_I0+2:vgprValuA_X3_I0+2+1], v[vgprLocalReadAddrA] offset:64 // L -> Reg lro=0 swapByteOffset=0 ti=256 vIdx=0 rIdx=0 oIdx=0 buffer=3 iui=0


/* local read b */

_ds_load_b64 v[vgprValuB_X3_I0+0:vgprValuB_X3_I0+0+1], v[vgprLocalReadAddrB] offset:0 // L -> Reg lro=0 swapByteOffset=0 ti=128 vIdx=0 rIdx=0 oIdx=0 buffer=3 iui=0
_ds_load_b64 v[vgprValuB_X3_I0+2:vgprValuB_X3_I0+2+1], v[vgprLocalReadAddrB] offset:64 // L -> Reg lro=0 swapByteOffset=0 ti=128 vIdx=0 rIdx=0 oIdx=0 buffer=3 iui=0
	;; [unrolled: 1-line block ×8, first 2 shown]


/* local read inc a */

s_mov_b32 s56, 0x10                                // inc
_v_add_co_u32 v[vgprLocalReadAddrA], vcc, s56, v[vgprLocalReadAddrA] // lrA += 16 (LSU*bpe)


/* local read inc b */

s_mov_b32 s56, 0x10                                // inc
_v_add_co_u32 v[vgprLocalReadAddrB], vcc, s56, v[vgprLocalReadAddrB] // lrB += 16 (LSU*bpe)

s_waitcnt lgkmcnt(0)                               // lgkmcnt=0 vmcnt=-14wait for local read


	;; [unrolled: 1-line block ×3, first 2 shown]
/* tail loop mfma iter 3: numReadsIterCoalescedA=1, numReadsIterCoalescedB=1 */
v_and_b32 v119, 63, v[vgprSerial]                  // v119 = v[vgprSerial] % 64
v_lshrrev_b32 v119, 5, v119                        // v119 = v119 / 32
v_lshlrev_b32 v119, 0x3, v119                      // v119 = v119 * 8
v_cmp_ge_i32 s[64:65], v119, s[sgprLoopCounterL]   // check K index >= Size L
v_cndmask_b32 v[vgprValuA_X3_I0+0+0+0+0], v[vgprValuA_X3_I0+0+0+0+0], 0x0, s[64:65] // set 0 if K_idx >= sizeL
v_cndmask_b32 v[vgprValuA_X3_I0+2+0+0+0], v[vgprValuA_X3_I0+2+0+0+0], 0x0, s[64:65] // set 0 if K_idx >= sizeL
v_cndmask_b32 v[vgprValuB_X3_I0+0+0+0+0], v[vgprValuB_X3_I0+0+0+0+0], 0x0, s[64:65] // set 0 if K_idx >= sizeL
v_cndmask_b32 v[vgprValuB_X3_I0+2+0+0+0], v[vgprValuB_X3_I0+2+0+0+0], 0x0, s[64:65] // set 0 if K_idx >= sizeL
	;; [unrolled: 1-line block ×8, first 2 shown]
v_cndmask_b32 v[vgprValuA_X3_I0+0+0+0+1], v[vgprValuA_X3_I0+0+0+0+1], 0x0, s[64:65] // set 0 if K_idx >= sizeL
v_cndmask_b32 v[vgprValuA_X3_I0+2+0+0+1], v[vgprValuA_X3_I0+2+0+0+1], 0x0, s[64:65] // set 0 if K_idx >= sizeL
v_cndmask_b32 v[vgprValuB_X3_I0+0+0+0+1], v[vgprValuB_X3_I0+0+0+0+1], 0x0, s[64:65] // set 0 if K_idx >= sizeL
v_cndmask_b32 v[vgprValuB_X3_I0+2+0+0+1], v[vgprValuB_X3_I0+2+0+0+1], 0x0, s[64:65] // set 0 if K_idx >= sizeL
	;; [unrolled: 1-line block ×8, first 2 shown]
_v_sub_u32 v119, s[sgprLoopCounterL], v119         // get distance between size and k index
v_cmp_lt_i32 s[64:65], v119, 8                     // set partial 0 if distance less than input per thread
s_and_b32 s66, s[sgprLoopCounterL], 7              // get inputs for edge thread
s_sub_u32 s66, 8, s66                              // use shift to fill 0 for outside element
s_lshl_b32 s66, s66, 3                             // use shift to fill 0 for outside element
v_mov_b32 v120, -1                                 // set 0xffffffff
v_mov_b32 v121, -1                                 // set 0xffffffff
v_lshrrev_b64 v[120:121], s66, v[120:121]          // rshift mask for partial k
v_cndmask_b32 v120, -1, v120, s[64:65]             // select shifted mask for partial k
v_cndmask_b32 v121, -1, v121, s[64:65]             // select shifted mask for partial k
v_and_b32 v[vgprValuA_X3_I0+0+0+0+0], v[vgprValuA_X3_I0+0+0+0+0], v120 // 
v_and_b32 v[vgprValuA_X3_I0+0+0+0+1], v[vgprValuA_X3_I0+0+0+0+1], v121 // 
	;; [unrolled: 1-line block ×4, first 2 shown]
v_and_b32 v[vgprValuB_X3_I0+0+0+0+0], v[vgprValuB_X3_I0+0+0+0+0], v120 // 
v_and_b32 v[vgprValuB_X3_I0+0+0+0+1], v[vgprValuB_X3_I0+0+0+0+1], v121 // 
	;; [unrolled: 1-line block ×16, first 2 shown]
s_nop 1
v_mfma_f32_32x32x16_fp8_fp8 a[0+0:15+0], v[vgprValuB_X3_I0+0+0+0:vgprValuB_X3_I0+0+0+0+1], v[vgprValuA_X3_I0+0+0+0:vgprValuA_X3_I0+0+0+0+1], a[0:15]
v_mfma_f32_32x32x16_fp8_fp8 a[16+0:31+0], v[vgprValuB_X3_I0+0+0+0:vgprValuB_X3_I0+0+0+0+1], v[vgprValuA_X3_I0+2+0+0:vgprValuA_X3_I0+2+0+0+1], a[16:31]
	;; [unrolled: 1-line block ×16, first 2 shown]


/* closeLoop loopL finalLoop=1 tailLoop=1 */
s_sub_i32 s[sgprLoopCounterL], s[sgprLoopCounterL], 0x10 // dec counterL (tailLoop)
s_add_u32 s[sgprOrigLoopCounter], s[sgprOrigLoopCounter], 0x10 // inc counterL
s_cmp_le_i32 s[sgprLoopCounterL], 0x0              // counterL<=0
s_cbranch_scc0 TailLoopBeginL_6                    // restart LoopL
TailLoopEndL_7:

SkipTailLoopL_8:

Summation_End_30:
/* endSummation: add vgpr [0...116) to pool */
.set NumFullBlocks, UNDEF
.set WgmRemainder1, UNDEF
.set MagicNumberWgmRemainder1, UNDEF
.set ScalarGlobalReadOffsetA, UNDEF
.set ScalarGlobalReadOffsetB, UNDEF

/* Mapping of Acc register -> C Vgpr register */



/* not-LocalSplitU: global write indices */

/* computeStoreVgprs */
v_lshrrev_b32 v4, 6, v[vgprSerial]                 // v4 = v[vgprSerial] / 64
v_and_b32 v1, 63, v[vgprSerial]                    // v1 = v[vgprSerial] % 64
v_lshrrev_b32 v1, 5, v1                            // v1 = v1 / 32
v_lshlrev_b32 v1, 0x2, v1                          // thread0 * continuous_output
v_lshrrev_b32 v5, 2, v4                            // v5 = v4 / 4
v_mul_lo_u32 v5, 0x20, v5                          // wave coordination offset 1
_v_add_lshl_u32 v1, v5, v1, 2                      // coordination 1 = vwb *(wave_id1 + tid1)
v_mul_lo_u32 v2, v1, s[sgprStrideC1J]              //  offset 1
v_mul_lo_u32 v3, v1, s[sgprStrideD1J]              //  offset 1
v_and_b32 v5, 3, v4                                // v5 = v4 % 4
v_mul_lo_u32 v5, 0x20, v5                          // wave coordination offset 0
v_and_b32 v0, 31, v[vgprSerial]                    // v0 = v[vgprSerial] % 32
_v_add_lshl_u32 v0, v5, v0, 1                      // coordination 0 = vwa *(wave_id0 + tid0)
s_mul_i32 s53, 256, s[sgprWorkGroup0]              // wgp0 * MT0
_v_add_u32 v0, s53, v0                             // coord 0 = (tid0/MI_m)*4 + waveG0*MIB_m + MT0*SG0
s_mul_i32 s53, 256, s[sgprWorkGroup1]              // wgp1 * MT1
_v_add_u32 v1, s53, v1                             // coord 1 = (tid0%MI_m) + waveG1*MIB_n + MT1*SG1


/* not-LocalSplitU: global write */

s_cmpk_eq_u32 s[sgprBeta], 0x0                     // Beta == 0
s_cbranch_scc0 GW_Beta_45                          // Branch if Beta is not zero

s_and_b32 s54, 255, s[sgprSizeI]                   // s54 = s[sgprSizeI] % 256
s_add_u32 s55, -0x1, s[sgprNumWorkGroups0]         // 
s_cmp_ge_u32 s[sgprWorkGroup0], s55                // wg0 >= nwg0-1 ?
s_cselect_b32 s54, s54, 0                          // set rMT0
s_cmpk_gt_u32 s54, 0x0                             // rMT0 > 0
s_cbranch_scc1 GW_B0_E1_36                         // jump if edges required
s_and_b32 s54, 255, s[sgprSizeJ]                   // s54 = s[sgprSizeJ] % 256
s_add_u32 s55, -0x1, s[sgprNumWorkGroups1]         // 
s_cmp_ge_u32 s[sgprWorkGroup1], s55                // wg1 >= nwg1-1
s_cselect_b32 s54, s54, 0                          // set rMT1
s_cmpk_gt_u32 s54, 0x0                             // rMT1 > 0
s_cbranch_scc1 GW_B0_E1_36                         // jump if edges required
GW_B0_E0_33:

/* edge=0, allocate 2 sgpr. perBatchTmpS=2 perBatchMaskS=0 perElementMaskS=0 elementsPerBatch=119 */
/* optSingleColVgpr=1 optSharedColVgpr=0 optSGPRUsage=BufferLoad_Mask optSrdIncForRow=1 */

/******************************************/
/* Global Write Alpha Batch #0 (d1,d0,vc1,vc0) = */
/*    (0,0,0,0:vw2); (0,0,1,0:vw2); (0,0,2,0:vw2); (0,0,3,0:vw2); (0,0,4,0:vw2); (0,0,5,0:vw2); (0,0,6,0:vw2); (0,0,7,0:vw2); (0,0,8,0:vw2); (0,0,9,0:vw2); (0,0,10,0:vw2); (0,0,11,0:vw2); (0,0,12,0:vw2); (0,0,13,0:vw2); (0,0,14,0:vw2); (0,0,15,0:vw2); (1,0,0,0:vw2); (1,0,1,0:vw2); (1,0,2,0:vw2); (1,0,3,0:vw2); (1,0,4,0:vw2); (1,0,5,0:vw2); (1,0,6,0:vw2); (1,0,7,0:vw2); (1,0,8,0:vw2); (1,0,9,0:vw2); (1,0,10,0:vw2); (1,0,11,0:vw2); (1,0,12,0:vw2); (1,0,13,0:vw2); (1,0,14,0:vw2); (1,0,15,0:vw2); (2,0,0,0:vw2); (2,0,1,0:vw2); (2,0,2,0:vw2); (2,0,3,0:vw2); (2,0,4,0:vw2); (2,0,5,0:vw2); (2,0,6,0:vw2); (2,0,7,0:vw2); (2,0,8,0:vw2); (2,0,9,0:vw2); (2,0,10,0:vw2); (2,0,11,0:vw2); (2,0,12,0:vw2); (2,0,13,0:vw2); (2,0,14,0:vw2); (2,0,15,0:vw2); (3,0,0,0:vw2); (3,0,1,0:vw2); (3,0,2,0:vw2); (3,0,3,0:vw2); (3,0,4,0:vw2); (3,0,5,0:vw2); (3,0,6,0:vw2); (3,0,7,0:vw2); (3,0,8,0:vw2); (3,0,9,0:vw2); (3,0,10,0:vw2); (3,0,11,0:vw2); (3,0,12,0:vw2); (3,0,13,0:vw2); (3,0,14,0:vw2); (3,0,15,0:vw2); (4,0,0,0:vw2); (4,0,1,0:vw2); (4,0,2,0:vw2); (4,0,3,0:vw2); (4,0,4,0:vw2); (4,0,5,0:vw2); (4,0,6,0:vw2); (4,0,7,0:vw2); (4,0,8,0:vw2); (4,0,9,0:vw2); (4,0,10,0:vw2); (4,0,11,0:vw2); (4,0,12,0:vw2); (4,0,13,0:vw2); (4,0,14,0:vw2); (4,0,15,0:vw2); (5,0,0,0:vw2); (5,0,1,0:vw2); (5,0,2,0:vw2); (5,0,3,0:vw2); (5,0,4,0:vw2); (5,0,5,0:vw2); (5,0,6,0:vw2); (5,0,7,0:vw2); (5,0,8,0:vw2); (5,0,9,0:vw2); (5,0,10,0:vw2); (5,0,11,0:vw2); (5,0,12,0:vw2); (5,0,13,0:vw2); (5,0,14,0:vw2); (5,0,15,0:vw2); (6,0,0,0:vw2); (6,0,1,0:vw2); (6,0,2,0:vw2); (6,0,3,0:vw2); (6,0,4,0:vw2); (6,0,5,0:vw2); (6,0,6,0:vw2); (6,0,7,0:vw2); (6,0,8,0:vw2); (6,0,9,0:vw2); (6,0,10,0:vw2); (6,0,11,0:vw2); (6,0,12,0:vw2); (6,0,13,0:vw2); (6,0,14,0:vw2); (6,0,15,0:vw2); (7,0,0,0:vw2); (7,0,1,0:vw2); (7,0,2,0:vw2); (7,0,3,0:vw2); (7,0,4,0:vw2); (7,0,5,0:vw2); (7,0,6,0:vw2) */
/******************************************/

/* calc coords, apply mask, and issue loads (if necessary) */
/* (d1,vc1,d0,vc0)=(0,0,0,0) */
/* (d1,vc1,d0,vc0)=(0,1,0,0) */
	;; [unrolled: 1-line block ×119, first 2 shown]
_v_add_lshl_u32 v11, v3, v0, 0x0                   // optSingleColVgpr scaleToBpe: sharedAddrVgpr <- cinRowPtr + coord0, scaled by BPE. BSHERE:coord0=0, coord0Vgpr=0
v_accvgpr_read_b32 v[vgprValuC+14], acc0 // copy acc to vreg[0]
v_accvgpr_read_b32 v[vgprValuC+15], acc16 // copy acc to vreg[1]
v_accvgpr_read_b32 v[vgprValuC+16], acc32 // copy acc to vreg[2]
v_accvgpr_read_b32 v[vgprValuC+17], acc48 // copy acc to vreg[3]
v_accvgpr_read_b32 v[vgprValuC+18], acc64 // copy acc to vreg[4]
v_accvgpr_read_b32 v[vgprValuC+19], acc80 // copy acc to vreg[5]
v_accvgpr_read_b32 v[vgprValuC+20], acc96 // copy acc to vreg[6]
v_accvgpr_read_b32 v[vgprValuC+21], acc112 // copy acc to vreg[7]
v_accvgpr_read_b32 v[vgprValuC+22], acc1 // copy acc to vreg[8]
v_accvgpr_read_b32 v[vgprValuC+23], acc17 // copy acc to vreg[9]
v_accvgpr_read_b32 v[vgprValuC+24], acc33 // copy acc to vreg[10]
v_accvgpr_read_b32 v[vgprValuC+25], acc49 // copy acc to vreg[11]
v_accvgpr_read_b32 v[vgprValuC+26], acc65 // copy acc to vreg[12]
v_accvgpr_read_b32 v[vgprValuC+27], acc81 // copy acc to vreg[13]
v_accvgpr_read_b32 v[vgprValuC+28], acc97 // copy acc to vreg[14]
v_accvgpr_read_b32 v[vgprValuC+29], acc113 // copy acc to vreg[15]
v_accvgpr_read_b32 v[vgprValuC+30], acc2 // copy acc to vreg[16]
v_accvgpr_read_b32 v[vgprValuC+31], acc18 // copy acc to vreg[17]
v_accvgpr_read_b32 v[vgprValuC+32], acc34 // copy acc to vreg[18]
v_accvgpr_read_b32 v[vgprValuC+33], acc50 // copy acc to vreg[19]
v_accvgpr_read_b32 v[vgprValuC+34], acc66 // copy acc to vreg[20]
v_accvgpr_read_b32 v[vgprValuC+35], acc82 // copy acc to vreg[21]
v_accvgpr_read_b32 v[vgprValuC+36], acc98 // copy acc to vreg[22]
v_accvgpr_read_b32 v[vgprValuC+37], acc114 // copy acc to vreg[23]
v_accvgpr_read_b32 v[vgprValuC+38], acc3 // copy acc to vreg[24]
v_accvgpr_read_b32 v[vgprValuC+39], acc19 // copy acc to vreg[25]
v_accvgpr_read_b32 v[vgprValuC+40], acc35 // copy acc to vreg[26]
v_accvgpr_read_b32 v[vgprValuC+41], acc51 // copy acc to vreg[27]
v_accvgpr_read_b32 v[vgprValuC+42], acc67 // copy acc to vreg[28]
v_accvgpr_read_b32 v[vgprValuC+43], acc83 // copy acc to vreg[29]
v_accvgpr_read_b32 v[vgprValuC+44], acc99 // copy acc to vreg[30]
v_accvgpr_read_b32 v[vgprValuC+45], acc115 // copy acc to vreg[31]
v_accvgpr_read_b32 v[vgprValuC+46], acc4 // copy acc to vreg[32]
v_accvgpr_read_b32 v[vgprValuC+47], acc20 // copy acc to vreg[33]
v_accvgpr_read_b32 v[vgprValuC+48], acc36 // copy acc to vreg[34]
v_accvgpr_read_b32 v[vgprValuC+49], acc52 // copy acc to vreg[35]
v_accvgpr_read_b32 v[vgprValuC+50], acc68 // copy acc to vreg[36]
v_accvgpr_read_b32 v[vgprValuC+51], acc84 // copy acc to vreg[37]
v_accvgpr_read_b32 v[vgprValuC+52], acc100 // copy acc to vreg[38]
v_accvgpr_read_b32 v[vgprValuC+53], acc116 // copy acc to vreg[39]
v_accvgpr_read_b32 v[vgprValuC+54], acc5 // copy acc to vreg[40]
v_accvgpr_read_b32 v[vgprValuC+55], acc21 // copy acc to vreg[41]
v_accvgpr_read_b32 v[vgprValuC+56], acc37 // copy acc to vreg[42]
v_accvgpr_read_b32 v[vgprValuC+57], acc53 // copy acc to vreg[43]
v_accvgpr_read_b32 v[vgprValuC+58], acc69 // copy acc to vreg[44]
v_accvgpr_read_b32 v[vgprValuC+59], acc85 // copy acc to vreg[45]
v_accvgpr_read_b32 v[vgprValuC+60], acc101 // copy acc to vreg[46]
v_accvgpr_read_b32 v[vgprValuC+61], acc117 // copy acc to vreg[47]
v_accvgpr_read_b32 v[vgprValuC+62], acc6 // copy acc to vreg[48]
v_accvgpr_read_b32 v[vgprValuC+63], acc22 // copy acc to vreg[49]
v_accvgpr_read_b32 v[vgprValuC+64], acc38 // copy acc to vreg[50]
v_accvgpr_read_b32 v[vgprValuC+65], acc54 // copy acc to vreg[51]
v_accvgpr_read_b32 v[vgprValuC+66], acc70 // copy acc to vreg[52]
v_accvgpr_read_b32 v[vgprValuC+67], acc86 // copy acc to vreg[53]
v_accvgpr_read_b32 v[vgprValuC+68], acc102 // copy acc to vreg[54]
v_accvgpr_read_b32 v[vgprValuC+69], acc118 // copy acc to vreg[55]
v_accvgpr_read_b32 v[vgprValuC+70], acc7 // copy acc to vreg[56]
v_accvgpr_read_b32 v[vgprValuC+71], acc23 // copy acc to vreg[57]
v_accvgpr_read_b32 v[vgprValuC+72], acc39 // copy acc to vreg[58]
v_accvgpr_read_b32 v[vgprValuC+73], acc55 // copy acc to vreg[59]
v_accvgpr_read_b32 v[vgprValuC+74], acc71 // copy acc to vreg[60]
v_accvgpr_read_b32 v[vgprValuC+75], acc87 // copy acc to vreg[61]
v_accvgpr_read_b32 v[vgprValuC+76], acc103 // copy acc to vreg[62]
v_accvgpr_read_b32 v[vgprValuC+77], acc119 // copy acc to vreg[63]
v_accvgpr_read_b32 v[vgprValuC+78], acc8 // copy acc to vreg[64]
v_accvgpr_read_b32 v[vgprValuC+79], acc24 // copy acc to vreg[65]
v_accvgpr_read_b32 v[vgprValuC+80], acc40 // copy acc to vreg[66]
v_accvgpr_read_b32 v[vgprValuC+81], acc56 // copy acc to vreg[67]
v_accvgpr_read_b32 v[vgprValuC+82], acc72 // copy acc to vreg[68]
v_accvgpr_read_b32 v[vgprValuC+83], acc88 // copy acc to vreg[69]
v_accvgpr_read_b32 v[vgprValuC+84], acc104 // copy acc to vreg[70]
v_accvgpr_read_b32 v[vgprValuC+85], acc120 // copy acc to vreg[71]
v_accvgpr_read_b32 v[vgprValuC+86], acc9 // copy acc to vreg[72]
v_accvgpr_read_b32 v[vgprValuC+87], acc25 // copy acc to vreg[73]
v_accvgpr_read_b32 v[vgprValuC+88], acc41 // copy acc to vreg[74]
v_accvgpr_read_b32 v[vgprValuC+89], acc57 // copy acc to vreg[75]
v_accvgpr_read_b32 v[vgprValuC+90], acc73 // copy acc to vreg[76]
v_accvgpr_read_b32 v[vgprValuC+91], acc89 // copy acc to vreg[77]
v_accvgpr_read_b32 v[vgprValuC+92], acc105 // copy acc to vreg[78]
v_accvgpr_read_b32 v[vgprValuC+93], acc121 // copy acc to vreg[79]
v_accvgpr_read_b32 v[vgprValuC+94], acc10 // copy acc to vreg[80]
v_accvgpr_read_b32 v[vgprValuC+95], acc26 // copy acc to vreg[81]
v_accvgpr_read_b32 v[vgprValuC+96], acc42 // copy acc to vreg[82]
v_accvgpr_read_b32 v[vgprValuC+97], acc58 // copy acc to vreg[83]
v_accvgpr_read_b32 v[vgprValuC+98], acc74 // copy acc to vreg[84]
v_accvgpr_read_b32 v[vgprValuC+99], acc90 // copy acc to vreg[85]
v_accvgpr_read_b32 v[vgprValuC+100], acc106 // copy acc to vreg[86]
v_accvgpr_read_b32 v[vgprValuC+101], acc122 // copy acc to vreg[87]
v_accvgpr_read_b32 v[vgprValuC+102], acc11 // copy acc to vreg[88]
v_accvgpr_read_b32 v[vgprValuC+103], acc27 // copy acc to vreg[89]
v_accvgpr_read_b32 v[vgprValuC+104], acc43 // copy acc to vreg[90]
v_accvgpr_read_b32 v[vgprValuC+105], acc59 // copy acc to vreg[91]
v_accvgpr_read_b32 v[vgprValuC+106], acc75 // copy acc to vreg[92]
v_accvgpr_read_b32 v[vgprValuC+107], acc91 // copy acc to vreg[93]
v_accvgpr_read_b32 v[vgprValuC+108], acc107 // copy acc to vreg[94]
v_accvgpr_read_b32 v[vgprValuC+109], acc123 // copy acc to vreg[95]
v_accvgpr_read_b32 v[vgprValuC+110], acc12 // copy acc to vreg[96]
v_accvgpr_read_b32 v[vgprValuC+111], acc28 // copy acc to vreg[97]
v_accvgpr_read_b32 v[vgprValuC+112], acc44 // copy acc to vreg[98]
v_accvgpr_read_b32 v[vgprValuC+113], acc60 // copy acc to vreg[99]
v_accvgpr_read_b32 v[vgprValuC+114], acc76 // copy acc to vreg[100]
v_accvgpr_read_b32 v[vgprValuC+115], acc92 // copy acc to vreg[101]
v_accvgpr_read_b32 v[vgprValuC+120], acc108 // copy acc to vreg[102]
v_accvgpr_read_b32 v[vgprValuC+121], acc124 // copy acc to vreg[103]
v_accvgpr_read_b32 v[vgprValuC+122], acc13 // copy acc to vreg[104]
v_accvgpr_read_b32 v[vgprValuC+123], acc29 // copy acc to vreg[105]
v_accvgpr_read_b32 v[vgprValuC+124], acc45 // copy acc to vreg[106]
v_accvgpr_read_b32 v[vgprValuC+125], acc61 // copy acc to vreg[107]
v_accvgpr_read_b32 v[vgprValuC+126], acc77 // copy acc to vreg[108]
v_accvgpr_read_b32 v[vgprValuC+127], acc93 // copy acc to vreg[109]
v_accvgpr_read_b32 v[vgprValuC+128], acc109 // copy acc to vreg[110]
v_accvgpr_read_b32 v[vgprValuC+129], acc125 // copy acc to vreg[111]
v_accvgpr_read_b32 v[vgprValuC+130], acc14 // copy acc to vreg[112]
v_accvgpr_read_b32 v[vgprValuC+131], acc30 // copy acc to vreg[113]
v_accvgpr_read_b32 v[vgprValuC+132], acc46 // copy acc to vreg[114]
v_accvgpr_read_b32 v[vgprValuC+133], acc62 // copy acc to vreg[115]
v_accvgpr_read_b32 v[vgprValuC+134], acc78 // copy acc to vreg[116]
v_accvgpr_read_b32 v[vgprValuC+135], acc94 // copy acc to vreg[117]
v_accvgpr_read_b32 v[vgprValuC+136], acc110 // copy acc to vreg[118]
v_accvgpr_read_b32 v[vgprValuC+137], acc126 // copy acc to vreg[119]
v_accvgpr_read_b32 v[vgprValuC+138], acc15 // copy acc to vreg[120]
v_accvgpr_read_b32 v[vgprValuC+139], acc31 // copy acc to vreg[121]
v_accvgpr_read_b32 v[vgprValuC+140], acc47 // copy acc to vreg[122]
v_accvgpr_read_b32 v[vgprValuC+141], acc63 // copy acc to vreg[123]
v_accvgpr_read_b32 v[vgprValuC+142], acc79 // copy acc to vreg[124]
v_accvgpr_read_b32 v[vgprValuC+143], acc95 // copy acc to vreg[125]
v_accvgpr_read_b32 v[vgprValuC+144], acc111 // copy acc to vreg[126]
v_accvgpr_read_b32 v[vgprValuC+145], acc127 // copy acc to vreg[127]
v_accvgpr_read_b32 v[vgprValuC+146], acc128 // copy acc to vreg[128]
v_accvgpr_read_b32 v[vgprValuC+147], acc144 // copy acc to vreg[129]
v_accvgpr_read_b32 v[vgprValuC+148], acc160 // copy acc to vreg[130]
v_accvgpr_read_b32 v[vgprValuC+149], acc176 // copy acc to vreg[131]
v_accvgpr_read_b32 v[vgprValuC+150], acc192 // copy acc to vreg[132]
v_accvgpr_read_b32 v[vgprValuC+151], acc208 // copy acc to vreg[133]
v_accvgpr_read_b32 v[vgprValuC+152], acc224 // copy acc to vreg[134]
v_accvgpr_read_b32 v[vgprValuC+153], acc240 // copy acc to vreg[135]
v_accvgpr_read_b32 v[vgprValuC+154], acc129 // copy acc to vreg[136]
v_accvgpr_read_b32 v[vgprValuC+155], acc145 // copy acc to vreg[137]
v_accvgpr_read_b32 v[vgprValuC+156], acc161 // copy acc to vreg[138]
v_accvgpr_read_b32 v[vgprValuC+157], acc177 // copy acc to vreg[139]
v_accvgpr_read_b32 v[vgprValuC+158], acc193 // copy acc to vreg[140]
v_accvgpr_read_b32 v[vgprValuC+159], acc209 // copy acc to vreg[141]
v_accvgpr_read_b32 v[vgprValuC+160], acc225 // copy acc to vreg[142]
v_accvgpr_read_b32 v[vgprValuC+161], acc241 // copy acc to vreg[143]
v_accvgpr_read_b32 v[vgprValuC+162], acc130 // copy acc to vreg[144]
v_accvgpr_read_b32 v[vgprValuC+163], acc146 // copy acc to vreg[145]
v_accvgpr_read_b32 v[vgprValuC+164], acc162 // copy acc to vreg[146]
v_accvgpr_read_b32 v[vgprValuC+165], acc178 // copy acc to vreg[147]
v_accvgpr_read_b32 v[vgprValuC+166], acc194 // copy acc to vreg[148]
v_accvgpr_read_b32 v[vgprValuC+167], acc210 // copy acc to vreg[149]
v_accvgpr_read_b32 v[vgprValuC+168], acc226 // copy acc to vreg[150]
v_accvgpr_read_b32 v[vgprValuC+169], acc242 // copy acc to vreg[151]
v_accvgpr_read_b32 v[vgprValuC+170], acc131 // copy acc to vreg[152]
v_accvgpr_read_b32 v[vgprValuC+171], acc147 // copy acc to vreg[153]
v_accvgpr_read_b32 v[vgprValuC+172], acc163 // copy acc to vreg[154]
v_accvgpr_read_b32 v[vgprValuC+173], acc179 // copy acc to vreg[155]
v_accvgpr_read_b32 v[vgprValuC+174], acc195 // copy acc to vreg[156]
v_accvgpr_read_b32 v[vgprValuC+175], acc211 // copy acc to vreg[157]
v_accvgpr_read_b32 v[vgprValuC+176], acc227 // copy acc to vreg[158]
v_accvgpr_read_b32 v[vgprValuC+177], acc243 // copy acc to vreg[159]
v_accvgpr_read_b32 v[vgprValuC+178], acc132 // copy acc to vreg[160]
v_accvgpr_read_b32 v[vgprValuC+179], acc148 // copy acc to vreg[161]
v_accvgpr_read_b32 v[vgprValuC+180], acc164 // copy acc to vreg[162]
v_accvgpr_read_b32 v[vgprValuC+181], acc180 // copy acc to vreg[163]
v_accvgpr_read_b32 v[vgprValuC+182], acc196 // copy acc to vreg[164]
v_accvgpr_read_b32 v[vgprValuC+183], acc212 // copy acc to vreg[165]
v_accvgpr_read_b32 v[vgprValuC+184], acc228 // copy acc to vreg[166]
v_accvgpr_read_b32 v[vgprValuC+185], acc244 // copy acc to vreg[167]
v_accvgpr_read_b32 v[vgprValuC+186], acc133 // copy acc to vreg[168]
v_accvgpr_read_b32 v[vgprValuC+187], acc149 // copy acc to vreg[169]
v_accvgpr_read_b32 v[vgprValuC+188], acc165 // copy acc to vreg[170]
v_accvgpr_read_b32 v[vgprValuC+189], acc181 // copy acc to vreg[171]
v_accvgpr_read_b32 v[vgprValuC+190], acc197 // copy acc to vreg[172]
v_accvgpr_read_b32 v[vgprValuC+191], acc213 // copy acc to vreg[173]
v_accvgpr_read_b32 v[vgprValuC+192], acc229 // copy acc to vreg[174]
v_accvgpr_read_b32 v[vgprValuC+193], acc245 // copy acc to vreg[175]
v_accvgpr_read_b32 v[vgprValuC+194], acc134 // copy acc to vreg[176]
v_accvgpr_read_b32 v[vgprValuC+195], acc150 // copy acc to vreg[177]
v_accvgpr_read_b32 v[vgprValuC+196], acc166 // copy acc to vreg[178]
v_accvgpr_read_b32 v[vgprValuC+197], acc182 // copy acc to vreg[179]
v_accvgpr_read_b32 v[vgprValuC+198], acc198 // copy acc to vreg[180]
v_accvgpr_read_b32 v[vgprValuC+199], acc214 // copy acc to vreg[181]
v_accvgpr_read_b32 v[vgprValuC+200], acc230 // copy acc to vreg[182]
v_accvgpr_read_b32 v[vgprValuC+201], acc246 // copy acc to vreg[183]
v_accvgpr_read_b32 v[vgprValuC+202], acc135 // copy acc to vreg[184]
v_accvgpr_read_b32 v[vgprValuC+203], acc151 // copy acc to vreg[185]
v_accvgpr_read_b32 v[vgprValuC+204], acc167 // copy acc to vreg[186]
v_accvgpr_read_b32 v[vgprValuC+205], acc183 // copy acc to vreg[187]
v_accvgpr_read_b32 v[vgprValuC+206], acc199 // copy acc to vreg[188]
v_accvgpr_read_b32 v[vgprValuC+207], acc215 // copy acc to vreg[189]
v_accvgpr_read_b32 v[vgprValuC+208], acc231 // copy acc to vreg[190]
v_accvgpr_read_b32 v[vgprValuC+209], acc247 // copy acc to vreg[191]
v_accvgpr_read_b32 v[vgprValuC+210], acc136 // copy acc to vreg[192]
v_accvgpr_read_b32 v[vgprValuC+211], acc152 // copy acc to vreg[193]
v_accvgpr_read_b32 v[vgprValuC+212], acc168 // copy acc to vreg[194]
v_accvgpr_read_b32 v[vgprValuC+213], acc184 // copy acc to vreg[195]
v_accvgpr_read_b32 v[vgprValuC+214], acc200 // copy acc to vreg[196]
v_accvgpr_read_b32 v[vgprValuC+215], acc216 // copy acc to vreg[197]
v_accvgpr_read_b32 v[vgprValuC+216], acc232 // copy acc to vreg[198]
v_accvgpr_read_b32 v[vgprValuC+217], acc248 // copy acc to vreg[199]
v_accvgpr_read_b32 v[vgprValuC+218], acc137 // copy acc to vreg[200]
v_accvgpr_read_b32 v[vgprValuC+219], acc153 // copy acc to vreg[201]
v_accvgpr_read_b32 v[vgprValuC+220], acc169 // copy acc to vreg[202]
v_accvgpr_read_b32 v[vgprValuC+221], acc185 // copy acc to vreg[203]
v_accvgpr_read_b32 v[vgprValuC+222], acc201 // copy acc to vreg[204]
v_accvgpr_read_b32 v[vgprValuC+223], acc217 // copy acc to vreg[205]
v_accvgpr_read_b32 v[vgprValuC+224], acc233 // copy acc to vreg[206]
v_accvgpr_read_b32 v[vgprValuC+225], acc249 // copy acc to vreg[207]
v_accvgpr_read_b32 v[vgprValuC+226], acc138 // copy acc to vreg[208]
v_accvgpr_read_b32 v[vgprValuC+227], acc154 // copy acc to vreg[209]
v_accvgpr_read_b32 v[vgprValuC+228], acc170 // copy acc to vreg[210]
v_accvgpr_read_b32 v[vgprValuC+229], acc186 // copy acc to vreg[211]
v_accvgpr_read_b32 v[vgprValuC+230], acc202 // copy acc to vreg[212]
v_accvgpr_read_b32 v[vgprValuC+231], acc218 // copy acc to vreg[213]
v_accvgpr_read_b32 v[vgprValuC+232], acc234 // copy acc to vreg[214]
v_accvgpr_read_b32 v[vgprValuC+233], acc250 // copy acc to vreg[215]
v_accvgpr_read_b32 v[vgprValuC+234], acc139 // copy acc to vreg[216]
v_accvgpr_read_b32 v[vgprValuC+235], acc155 // copy acc to vreg[217]
v_accvgpr_read_b32 v[vgprValuC+236], acc171 // copy acc to vreg[218]
v_accvgpr_read_b32 v[vgprValuC+237], acc187 // copy acc to vreg[219]
v_accvgpr_read_b32 v[vgprValuC+238], acc203 // copy acc to vreg[220]
v_accvgpr_read_b32 v[vgprValuC+239], acc219 // copy acc to vreg[221]
v_accvgpr_read_b32 v[vgprValuC+240], acc235 // copy acc to vreg[222]
v_accvgpr_read_b32 v[vgprValuC+241], acc251 // copy acc to vreg[223]
v_accvgpr_read_b32 v[vgprValuC+242], acc140 // copy acc to vreg[224]
v_accvgpr_read_b32 v[vgprValuC+243], acc156 // copy acc to vreg[225]
v_accvgpr_read_b32 v[vgprValuC+244], acc172 // copy acc to vreg[226]
v_accvgpr_read_b32 v[vgprValuC+245], acc188 // copy acc to vreg[227]
v_accvgpr_read_b32 v[vgprValuC+246], acc204 // copy acc to vreg[228]
v_accvgpr_read_b32 v[vgprValuC+247], acc220 // copy acc to vreg[229]
v_accvgpr_read_b32 v[vgprValuC+248], acc236 // copy acc to vreg[230]
v_accvgpr_read_b32 v[vgprValuC+249], acc252 // copy acc to vreg[231]
v_accvgpr_read_b32 v[vgprValuC+250], acc141 // copy acc to vreg[232]
v_accvgpr_read_b32 v[vgprValuC+251], acc157 // copy acc to vreg[233]
v_accvgpr_read_b32 v[vgprValuC+252], acc173 // copy acc to vreg[234]
v_accvgpr_read_b32 v[vgprValuC+253], acc189 // copy acc to vreg[235]
v_accvgpr_read_b32 v[vgprValuC+254], acc205 // copy acc to vreg[236]
v_accvgpr_read_b32 v[vgprValuC+255], acc221 // copy acc to vreg[237]
s_nop 1                                            // 2 wait states required before reading vgpr

/* rC *= alpha batchElements=[(0, 0, 0, 0), (0, 0, 1, 0), (0, 0, 2, 0), (0, 0, 3, 0), (0, 0, 4, 0), (0, 0, 5, 0), (0, 0, 6, 0), (0, 0, 7, 0), (0, 0, 8, 0), (0, 0, 9, 0), (0, 0, 10, 0), (0, 0, 11, 0), (0, 0, 12, 0), (0, 0, 13, 0), (0, 0, 14, 0), (0, 0, 15, 0), (1, 0, 0, 0), (1, 0, 1, 0), (1, 0, 2, 0), (1, 0, 3, 0), (1, 0, 4, 0), (1, 0, 5, 0), (1, 0, 6, 0), (1, 0, 7, 0), (1, 0, 8, 0), (1, 0, 9, 0), (1, 0, 10, 0), (1, 0, 11, 0), (1, 0, 12, 0), (1, 0, 13, 0), (1, 0, 14, 0), (1, 0, 15, 0), (2, 0, 0, 0), (2, 0, 1, 0), (2, 0, 2, 0), (2, 0, 3, 0), (2, 0, 4, 0), (2, 0, 5, 0), (2, 0, 6, 0), (2, 0, 7, 0), (2, 0, 8, 0), (2, 0, 9, 0), (2, 0, 10, 0), (2, 0, 11, 0), (2, 0, 12, 0), (2, 0, 13, 0), (2, 0, 14, 0), (2, 0, 15, 0), (3, 0, 0, 0), (3, 0, 1, 0), (3, 0, 2, 0), (3, 0, 3, 0), (3, 0, 4, 0), (3, 0, 5, 0), (3, 0, 6, 0), (3, 0, 7, 0), (3, 0, 8, 0), (3, 0, 9, 0), (3, 0, 10, 0), (3, 0, 11, 0), (3, 0, 12, 0), (3, 0, 13, 0), (3, 0, 14, 0), (3, 0, 15, 0), (4, 0, 0, 0), (4, 0, 1, 0), (4, 0, 2, 0), (4, 0, 3, 0), (4, 0, 4, 0), (4, 0, 5, 0), (4, 0, 6, 0), (4, 0, 7, 0), (4, 0, 8, 0), (4, 0, 9, 0), (4, 0, 10, 0), (4, 0, 11, 0), (4, 0, 12, 0), (4, 0, 13, 0), (4, 0, 14, 0), (4, 0, 15, 0), (5, 0, 0, 0), (5, 0, 1, 0), (5, 0, 2, 0), (5, 0, 3, 0), (5, 0, 4, 0), (5, 0, 5, 0), (5, 0, 6, 0), (5, 0, 7, 0), (5, 0, 8, 0), (5, 0, 9, 0), (5, 0, 10, 0), (5, 0, 11, 0), (5, 0, 12, 0), (5, 0, 13, 0), (5, 0, 14, 0), (5, 0, 15, 0), (6, 0, 0, 0), (6, 0, 1, 0), (6, 0, 2, 0), (6, 0, 3, 0), (6, 0, 4, 0), (6, 0, 5, 0), (6, 0, 6, 0), (6, 0, 7, 0), (6, 0, 8, 0), (6, 0, 9, 0), (6, 0, 10, 0), (6, 0, 11, 0), (6, 0, 12, 0), (6, 0, 13, 0), (6, 0, 14, 0), (6, 0, 15, 0), (7, 0, 0, 0), (7, 0, 1, 0), (7, 0, 2, 0), (7, 0, 3, 0), (7, 0, 4, 0), (7, 0, 5, 0), (7, 0, 6, 0)] */
v_mul_f32 v[vgprValuC+14], s[sgprAlpha], v[vgprValuC+14] // *= alpha
v_mul_f32 v[vgprValuC+15], s[sgprAlpha], v[vgprValuC+15] // *= alpha
v_mul_f32 v[vgprValuC+16], s[sgprAlpha], v[vgprValuC+16] // *= alpha
v_mul_f32 v[vgprValuC+17], s[sgprAlpha], v[vgprValuC+17] // *= alpha
v_mul_f32 v[vgprValuC+18], s[sgprAlpha], v[vgprValuC+18] // *= alpha
v_mul_f32 v[vgprValuC+19], s[sgprAlpha], v[vgprValuC+19] // *= alpha
v_mul_f32 v[vgprValuC+20], s[sgprAlpha], v[vgprValuC+20] // *= alpha
v_mul_f32 v[vgprValuC+21], s[sgprAlpha], v[vgprValuC+21] // *= alpha
v_mul_f32 v[vgprValuC+22], s[sgprAlpha], v[vgprValuC+22] // *= alpha
v_mul_f32 v[vgprValuC+23], s[sgprAlpha], v[vgprValuC+23] // *= alpha
v_mul_f32 v[vgprValuC+24], s[sgprAlpha], v[vgprValuC+24] // *= alpha
v_mul_f32 v[vgprValuC+25], s[sgprAlpha], v[vgprValuC+25] // *= alpha
v_mul_f32 v[vgprValuC+26], s[sgprAlpha], v[vgprValuC+26] // *= alpha
v_mul_f32 v[vgprValuC+27], s[sgprAlpha], v[vgprValuC+27] // *= alpha
v_mul_f32 v[vgprValuC+28], s[sgprAlpha], v[vgprValuC+28] // *= alpha
v_mul_f32 v[vgprValuC+29], s[sgprAlpha], v[vgprValuC+29] // *= alpha
v_mul_f32 v[vgprValuC+30], s[sgprAlpha], v[vgprValuC+30] // *= alpha
v_mul_f32 v[vgprValuC+31], s[sgprAlpha], v[vgprValuC+31] // *= alpha
v_mul_f32 v[vgprValuC+32], s[sgprAlpha], v[vgprValuC+32] // *= alpha
v_mul_f32 v[vgprValuC+33], s[sgprAlpha], v[vgprValuC+33] // *= alpha
v_mul_f32 v[vgprValuC+34], s[sgprAlpha], v[vgprValuC+34] // *= alpha
v_mul_f32 v[vgprValuC+35], s[sgprAlpha], v[vgprValuC+35] // *= alpha
v_mul_f32 v[vgprValuC+36], s[sgprAlpha], v[vgprValuC+36] // *= alpha
v_mul_f32 v[vgprValuC+37], s[sgprAlpha], v[vgprValuC+37] // *= alpha
v_mul_f32 v[vgprValuC+38], s[sgprAlpha], v[vgprValuC+38] // *= alpha
v_mul_f32 v[vgprValuC+39], s[sgprAlpha], v[vgprValuC+39] // *= alpha
v_mul_f32 v[vgprValuC+40], s[sgprAlpha], v[vgprValuC+40] // *= alpha
v_mul_f32 v[vgprValuC+41], s[sgprAlpha], v[vgprValuC+41] // *= alpha
v_mul_f32 v[vgprValuC+42], s[sgprAlpha], v[vgprValuC+42] // *= alpha
v_mul_f32 v[vgprValuC+43], s[sgprAlpha], v[vgprValuC+43] // *= alpha
v_mul_f32 v[vgprValuC+44], s[sgprAlpha], v[vgprValuC+44] // *= alpha
v_mul_f32 v[vgprValuC+45], s[sgprAlpha], v[vgprValuC+45] // *= alpha
v_mul_f32 v[vgprValuC+46], s[sgprAlpha], v[vgprValuC+46] // *= alpha
v_mul_f32 v[vgprValuC+47], s[sgprAlpha], v[vgprValuC+47] // *= alpha
v_mul_f32 v[vgprValuC+48], s[sgprAlpha], v[vgprValuC+48] // *= alpha
v_mul_f32 v[vgprValuC+49], s[sgprAlpha], v[vgprValuC+49] // *= alpha
v_mul_f32 v[vgprValuC+50], s[sgprAlpha], v[vgprValuC+50] // *= alpha
v_mul_f32 v[vgprValuC+51], s[sgprAlpha], v[vgprValuC+51] // *= alpha
v_mul_f32 v[vgprValuC+52], s[sgprAlpha], v[vgprValuC+52] // *= alpha
v_mul_f32 v[vgprValuC+53], s[sgprAlpha], v[vgprValuC+53] // *= alpha
v_mul_f32 v[vgprValuC+54], s[sgprAlpha], v[vgprValuC+54] // *= alpha
v_mul_f32 v[vgprValuC+55], s[sgprAlpha], v[vgprValuC+55] // *= alpha
v_mul_f32 v[vgprValuC+56], s[sgprAlpha], v[vgprValuC+56] // *= alpha
v_mul_f32 v[vgprValuC+57], s[sgprAlpha], v[vgprValuC+57] // *= alpha
v_mul_f32 v[vgprValuC+58], s[sgprAlpha], v[vgprValuC+58] // *= alpha
v_mul_f32 v[vgprValuC+59], s[sgprAlpha], v[vgprValuC+59] // *= alpha
v_mul_f32 v[vgprValuC+60], s[sgprAlpha], v[vgprValuC+60] // *= alpha
v_mul_f32 v[vgprValuC+61], s[sgprAlpha], v[vgprValuC+61] // *= alpha
v_mul_f32 v[vgprValuC+62], s[sgprAlpha], v[vgprValuC+62] // *= alpha
v_mul_f32 v[vgprValuC+63], s[sgprAlpha], v[vgprValuC+63] // *= alpha
v_mul_f32 v[vgprValuC+64], s[sgprAlpha], v[vgprValuC+64] // *= alpha
v_mul_f32 v[vgprValuC+65], s[sgprAlpha], v[vgprValuC+65] // *= alpha
v_mul_f32 v[vgprValuC+66], s[sgprAlpha], v[vgprValuC+66] // *= alpha
v_mul_f32 v[vgprValuC+67], s[sgprAlpha], v[vgprValuC+67] // *= alpha
v_mul_f32 v[vgprValuC+68], s[sgprAlpha], v[vgprValuC+68] // *= alpha
v_mul_f32 v[vgprValuC+69], s[sgprAlpha], v[vgprValuC+69] // *= alpha
v_mul_f32 v[vgprValuC+70], s[sgprAlpha], v[vgprValuC+70] // *= alpha
v_mul_f32 v[vgprValuC+71], s[sgprAlpha], v[vgprValuC+71] // *= alpha
v_mul_f32 v[vgprValuC+72], s[sgprAlpha], v[vgprValuC+72] // *= alpha
v_mul_f32 v[vgprValuC+73], s[sgprAlpha], v[vgprValuC+73] // *= alpha
v_mul_f32 v[vgprValuC+74], s[sgprAlpha], v[vgprValuC+74] // *= alpha
v_mul_f32 v[vgprValuC+75], s[sgprAlpha], v[vgprValuC+75] // *= alpha
v_mul_f32 v[vgprValuC+76], s[sgprAlpha], v[vgprValuC+76] // *= alpha
v_mul_f32 v[vgprValuC+77], s[sgprAlpha], v[vgprValuC+77] // *= alpha
v_mul_f32 v[vgprValuC+78], s[sgprAlpha], v[vgprValuC+78] // *= alpha
v_mul_f32 v[vgprValuC+79], s[sgprAlpha], v[vgprValuC+79] // *= alpha
v_mul_f32 v[vgprValuC+80], s[sgprAlpha], v[vgprValuC+80] // *= alpha
v_mul_f32 v[vgprValuC+81], s[sgprAlpha], v[vgprValuC+81] // *= alpha
v_mul_f32 v[vgprValuC+82], s[sgprAlpha], v[vgprValuC+82] // *= alpha
v_mul_f32 v[vgprValuC+83], s[sgprAlpha], v[vgprValuC+83] // *= alpha
v_mul_f32 v[vgprValuC+84], s[sgprAlpha], v[vgprValuC+84] // *= alpha
v_mul_f32 v[vgprValuC+85], s[sgprAlpha], v[vgprValuC+85] // *= alpha
v_mul_f32 v[vgprValuC+86], s[sgprAlpha], v[vgprValuC+86] // *= alpha
v_mul_f32 v[vgprValuC+87], s[sgprAlpha], v[vgprValuC+87] // *= alpha
v_mul_f32 v[vgprValuC+88], s[sgprAlpha], v[vgprValuC+88] // *= alpha
v_mul_f32 v[vgprValuC+89], s[sgprAlpha], v[vgprValuC+89] // *= alpha
v_mul_f32 v[vgprValuC+90], s[sgprAlpha], v[vgprValuC+90] // *= alpha
v_mul_f32 v[vgprValuC+91], s[sgprAlpha], v[vgprValuC+91] // *= alpha
v_mul_f32 v[vgprValuC+92], s[sgprAlpha], v[vgprValuC+92] // *= alpha
v_mul_f32 v[vgprValuC+93], s[sgprAlpha], v[vgprValuC+93] // *= alpha
v_mul_f32 v[vgprValuC+94], s[sgprAlpha], v[vgprValuC+94] // *= alpha
v_mul_f32 v[vgprValuC+95], s[sgprAlpha], v[vgprValuC+95] // *= alpha
v_mul_f32 v[vgprValuC+96], s[sgprAlpha], v[vgprValuC+96] // *= alpha
v_mul_f32 v[vgprValuC+97], s[sgprAlpha], v[vgprValuC+97] // *= alpha
v_mul_f32 v[vgprValuC+98], s[sgprAlpha], v[vgprValuC+98] // *= alpha
v_mul_f32 v[vgprValuC+99], s[sgprAlpha], v[vgprValuC+99] // *= alpha
v_mul_f32 v[vgprValuC+100], s[sgprAlpha], v[vgprValuC+100] // *= alpha
v_mul_f32 v[vgprValuC+101], s[sgprAlpha], v[vgprValuC+101] // *= alpha
v_mul_f32 v[vgprValuC+102], s[sgprAlpha], v[vgprValuC+102] // *= alpha
v_mul_f32 v[vgprValuC+103], s[sgprAlpha], v[vgprValuC+103] // *= alpha
v_mul_f32 v[vgprValuC+104], s[sgprAlpha], v[vgprValuC+104] // *= alpha
v_mul_f32 v[vgprValuC+105], s[sgprAlpha], v[vgprValuC+105] // *= alpha
v_mul_f32 v[vgprValuC+106], s[sgprAlpha], v[vgprValuC+106] // *= alpha
v_mul_f32 v[vgprValuC+107], s[sgprAlpha], v[vgprValuC+107] // *= alpha
v_mul_f32 v[vgprValuC+108], s[sgprAlpha], v[vgprValuC+108] // *= alpha
v_mul_f32 v[vgprValuC+109], s[sgprAlpha], v[vgprValuC+109] // *= alpha
v_mul_f32 v[vgprValuC+110], s[sgprAlpha], v[vgprValuC+110] // *= alpha
v_mul_f32 v[vgprValuC+111], s[sgprAlpha], v[vgprValuC+111] // *= alpha
v_mul_f32 v[vgprValuC+112], s[sgprAlpha], v[vgprValuC+112] // *= alpha
v_mul_f32 v[vgprValuC+113], s[sgprAlpha], v[vgprValuC+113] // *= alpha
v_mul_f32 v[vgprValuC+114], s[sgprAlpha], v[vgprValuC+114] // *= alpha
v_mul_f32 v[vgprValuC+115], s[sgprAlpha], v[vgprValuC+115] // *= alpha
v_mul_f32 v[vgprValuC+120], s[sgprAlpha], v[vgprValuC+120] // *= alpha
v_mul_f32 v[vgprValuC+121], s[sgprAlpha], v[vgprValuC+121] // *= alpha
v_mul_f32 v[vgprValuC+122], s[sgprAlpha], v[vgprValuC+122] // *= alpha
v_mul_f32 v[vgprValuC+123], s[sgprAlpha], v[vgprValuC+123] // *= alpha
v_mul_f32 v[vgprValuC+124], s[sgprAlpha], v[vgprValuC+124] // *= alpha
v_mul_f32 v[vgprValuC+125], s[sgprAlpha], v[vgprValuC+125] // *= alpha
v_mul_f32 v[vgprValuC+126], s[sgprAlpha], v[vgprValuC+126] // *= alpha
v_mul_f32 v[vgprValuC+127], s[sgprAlpha], v[vgprValuC+127] // *= alpha
v_mul_f32 v[vgprValuC+128], s[sgprAlpha], v[vgprValuC+128] // *= alpha
v_mul_f32 v[vgprValuC+129], s[sgprAlpha], v[vgprValuC+129] // *= alpha
v_mul_f32 v[vgprValuC+130], s[sgprAlpha], v[vgprValuC+130] // *= alpha
v_mul_f32 v[vgprValuC+131], s[sgprAlpha], v[vgprValuC+131] // *= alpha
v_mul_f32 v[vgprValuC+132], s[sgprAlpha], v[vgprValuC+132] // *= alpha
v_mul_f32 v[vgprValuC+133], s[sgprAlpha], v[vgprValuC+133] // *= alpha
v_mul_f32 v[vgprValuC+134], s[sgprAlpha], v[vgprValuC+134] // *= alpha
v_mul_f32 v[vgprValuC+135], s[sgprAlpha], v[vgprValuC+135] // *= alpha
v_mul_f32 v[vgprValuC+136], s[sgprAlpha], v[vgprValuC+136] // *= alpha
v_mul_f32 v[vgprValuC+137], s[sgprAlpha], v[vgprValuC+137] // *= alpha
v_mul_f32 v[vgprValuC+138], s[sgprAlpha], v[vgprValuC+138] // *= alpha
v_mul_f32 v[vgprValuC+139], s[sgprAlpha], v[vgprValuC+139] // *= alpha
v_mul_f32 v[vgprValuC+140], s[sgprAlpha], v[vgprValuC+140] // *= alpha
v_mul_f32 v[vgprValuC+141], s[sgprAlpha], v[vgprValuC+141] // *= alpha
v_mul_f32 v[vgprValuC+142], s[sgprAlpha], v[vgprValuC+142] // *= alpha
v_mul_f32 v[vgprValuC+143], s[sgprAlpha], v[vgprValuC+143] // *= alpha
v_mul_f32 v[vgprValuC+144], s[sgprAlpha], v[vgprValuC+144] // *= alpha
v_mul_f32 v[vgprValuC+145], s[sgprAlpha], v[vgprValuC+145] // *= alpha
v_mul_f32 v[vgprValuC+146], s[sgprAlpha], v[vgprValuC+146] // *= alpha
v_mul_f32 v[vgprValuC+147], s[sgprAlpha], v[vgprValuC+147] // *= alpha
v_mul_f32 v[vgprValuC+148], s[sgprAlpha], v[vgprValuC+148] // *= alpha
v_mul_f32 v[vgprValuC+149], s[sgprAlpha], v[vgprValuC+149] // *= alpha
v_mul_f32 v[vgprValuC+150], s[sgprAlpha], v[vgprValuC+150] // *= alpha
v_mul_f32 v[vgprValuC+151], s[sgprAlpha], v[vgprValuC+151] // *= alpha
v_mul_f32 v[vgprValuC+152], s[sgprAlpha], v[vgprValuC+152] // *= alpha
v_mul_f32 v[vgprValuC+153], s[sgprAlpha], v[vgprValuC+153] // *= alpha
v_mul_f32 v[vgprValuC+154], s[sgprAlpha], v[vgprValuC+154] // *= alpha
v_mul_f32 v[vgprValuC+155], s[sgprAlpha], v[vgprValuC+155] // *= alpha
v_mul_f32 v[vgprValuC+156], s[sgprAlpha], v[vgprValuC+156] // *= alpha
v_mul_f32 v[vgprValuC+157], s[sgprAlpha], v[vgprValuC+157] // *= alpha
v_mul_f32 v[vgprValuC+158], s[sgprAlpha], v[vgprValuC+158] // *= alpha
v_mul_f32 v[vgprValuC+159], s[sgprAlpha], v[vgprValuC+159] // *= alpha
v_mul_f32 v[vgprValuC+160], s[sgprAlpha], v[vgprValuC+160] // *= alpha
v_mul_f32 v[vgprValuC+161], s[sgprAlpha], v[vgprValuC+161] // *= alpha
v_mul_f32 v[vgprValuC+162], s[sgprAlpha], v[vgprValuC+162] // *= alpha
v_mul_f32 v[vgprValuC+163], s[sgprAlpha], v[vgprValuC+163] // *= alpha
v_mul_f32 v[vgprValuC+164], s[sgprAlpha], v[vgprValuC+164] // *= alpha
v_mul_f32 v[vgprValuC+165], s[sgprAlpha], v[vgprValuC+165] // *= alpha
v_mul_f32 v[vgprValuC+166], s[sgprAlpha], v[vgprValuC+166] // *= alpha
v_mul_f32 v[vgprValuC+167], s[sgprAlpha], v[vgprValuC+167] // *= alpha
v_mul_f32 v[vgprValuC+168], s[sgprAlpha], v[vgprValuC+168] // *= alpha
v_mul_f32 v[vgprValuC+169], s[sgprAlpha], v[vgprValuC+169] // *= alpha
v_mul_f32 v[vgprValuC+170], s[sgprAlpha], v[vgprValuC+170] // *= alpha
v_mul_f32 v[vgprValuC+171], s[sgprAlpha], v[vgprValuC+171] // *= alpha
v_mul_f32 v[vgprValuC+172], s[sgprAlpha], v[vgprValuC+172] // *= alpha
v_mul_f32 v[vgprValuC+173], s[sgprAlpha], v[vgprValuC+173] // *= alpha
v_mul_f32 v[vgprValuC+174], s[sgprAlpha], v[vgprValuC+174] // *= alpha
v_mul_f32 v[vgprValuC+175], s[sgprAlpha], v[vgprValuC+175] // *= alpha
v_mul_f32 v[vgprValuC+176], s[sgprAlpha], v[vgprValuC+176] // *= alpha
v_mul_f32 v[vgprValuC+177], s[sgprAlpha], v[vgprValuC+177] // *= alpha
v_mul_f32 v[vgprValuC+178], s[sgprAlpha], v[vgprValuC+178] // *= alpha
v_mul_f32 v[vgprValuC+179], s[sgprAlpha], v[vgprValuC+179] // *= alpha
v_mul_f32 v[vgprValuC+180], s[sgprAlpha], v[vgprValuC+180] // *= alpha
v_mul_f32 v[vgprValuC+181], s[sgprAlpha], v[vgprValuC+181] // *= alpha
v_mul_f32 v[vgprValuC+182], s[sgprAlpha], v[vgprValuC+182] // *= alpha
v_mul_f32 v[vgprValuC+183], s[sgprAlpha], v[vgprValuC+183] // *= alpha
v_mul_f32 v[vgprValuC+184], s[sgprAlpha], v[vgprValuC+184] // *= alpha
v_mul_f32 v[vgprValuC+185], s[sgprAlpha], v[vgprValuC+185] // *= alpha
v_mul_f32 v[vgprValuC+186], s[sgprAlpha], v[vgprValuC+186] // *= alpha
v_mul_f32 v[vgprValuC+187], s[sgprAlpha], v[vgprValuC+187] // *= alpha
v_mul_f32 v[vgprValuC+188], s[sgprAlpha], v[vgprValuC+188] // *= alpha
v_mul_f32 v[vgprValuC+189], s[sgprAlpha], v[vgprValuC+189] // *= alpha
v_mul_f32 v[vgprValuC+190], s[sgprAlpha], v[vgprValuC+190] // *= alpha
v_mul_f32 v[vgprValuC+191], s[sgprAlpha], v[vgprValuC+191] // *= alpha
v_mul_f32 v[vgprValuC+192], s[sgprAlpha], v[vgprValuC+192] // *= alpha
v_mul_f32 v[vgprValuC+193], s[sgprAlpha], v[vgprValuC+193] // *= alpha
v_mul_f32 v[vgprValuC+194], s[sgprAlpha], v[vgprValuC+194] // *= alpha
v_mul_f32 v[vgprValuC+195], s[sgprAlpha], v[vgprValuC+195] // *= alpha
v_mul_f32 v[vgprValuC+196], s[sgprAlpha], v[vgprValuC+196] // *= alpha
v_mul_f32 v[vgprValuC+197], s[sgprAlpha], v[vgprValuC+197] // *= alpha
v_mul_f32 v[vgprValuC+198], s[sgprAlpha], v[vgprValuC+198] // *= alpha
v_mul_f32 v[vgprValuC+199], s[sgprAlpha], v[vgprValuC+199] // *= alpha
v_mul_f32 v[vgprValuC+200], s[sgprAlpha], v[vgprValuC+200] // *= alpha
v_mul_f32 v[vgprValuC+201], s[sgprAlpha], v[vgprValuC+201] // *= alpha
v_mul_f32 v[vgprValuC+202], s[sgprAlpha], v[vgprValuC+202] // *= alpha
v_mul_f32 v[vgprValuC+203], s[sgprAlpha], v[vgprValuC+203] // *= alpha
v_mul_f32 v[vgprValuC+204], s[sgprAlpha], v[vgprValuC+204] // *= alpha
v_mul_f32 v[vgprValuC+205], s[sgprAlpha], v[vgprValuC+205] // *= alpha
v_mul_f32 v[vgprValuC+206], s[sgprAlpha], v[vgprValuC+206] // *= alpha
v_mul_f32 v[vgprValuC+207], s[sgprAlpha], v[vgprValuC+207] // *= alpha
v_mul_f32 v[vgprValuC+208], s[sgprAlpha], v[vgprValuC+208] // *= alpha
v_mul_f32 v[vgprValuC+209], s[sgprAlpha], v[vgprValuC+209] // *= alpha
v_mul_f32 v[vgprValuC+210], s[sgprAlpha], v[vgprValuC+210] // *= alpha
v_mul_f32 v[vgprValuC+211], s[sgprAlpha], v[vgprValuC+211] // *= alpha
v_mul_f32 v[vgprValuC+212], s[sgprAlpha], v[vgprValuC+212] // *= alpha
v_mul_f32 v[vgprValuC+213], s[sgprAlpha], v[vgprValuC+213] // *= alpha
v_mul_f32 v[vgprValuC+214], s[sgprAlpha], v[vgprValuC+214] // *= alpha
v_mul_f32 v[vgprValuC+215], s[sgprAlpha], v[vgprValuC+215] // *= alpha
v_mul_f32 v[vgprValuC+216], s[sgprAlpha], v[vgprValuC+216] // *= alpha
v_mul_f32 v[vgprValuC+217], s[sgprAlpha], v[vgprValuC+217] // *= alpha
v_mul_f32 v[vgprValuC+218], s[sgprAlpha], v[vgprValuC+218] // *= alpha
v_mul_f32 v[vgprValuC+219], s[sgprAlpha], v[vgprValuC+219] // *= alpha
v_mul_f32 v[vgprValuC+220], s[sgprAlpha], v[vgprValuC+220] // *= alpha
v_mul_f32 v[vgprValuC+221], s[sgprAlpha], v[vgprValuC+221] // *= alpha
v_mul_f32 v[vgprValuC+222], s[sgprAlpha], v[vgprValuC+222] // *= alpha
v_mul_f32 v[vgprValuC+223], s[sgprAlpha], v[vgprValuC+223] // *= alpha
v_mul_f32 v[vgprValuC+224], s[sgprAlpha], v[vgprValuC+224] // *= alpha
v_mul_f32 v[vgprValuC+225], s[sgprAlpha], v[vgprValuC+225] // *= alpha
v_mul_f32 v[vgprValuC+226], s[sgprAlpha], v[vgprValuC+226] // *= alpha
v_mul_f32 v[vgprValuC+227], s[sgprAlpha], v[vgprValuC+227] // *= alpha
v_mul_f32 v[vgprValuC+228], s[sgprAlpha], v[vgprValuC+228] // *= alpha
v_mul_f32 v[vgprValuC+229], s[sgprAlpha], v[vgprValuC+229] // *= alpha
v_mul_f32 v[vgprValuC+230], s[sgprAlpha], v[vgprValuC+230] // *= alpha
v_mul_f32 v[vgprValuC+231], s[sgprAlpha], v[vgprValuC+231] // *= alpha
v_mul_f32 v[vgprValuC+232], s[sgprAlpha], v[vgprValuC+232] // *= alpha
v_mul_f32 v[vgprValuC+233], s[sgprAlpha], v[vgprValuC+233] // *= alpha
v_mul_f32 v[vgprValuC+234], s[sgprAlpha], v[vgprValuC+234] // *= alpha
v_mul_f32 v[vgprValuC+235], s[sgprAlpha], v[vgprValuC+235] // *= alpha
v_mul_f32 v[vgprValuC+236], s[sgprAlpha], v[vgprValuC+236] // *= alpha
v_mul_f32 v[vgprValuC+237], s[sgprAlpha], v[vgprValuC+237] // *= alpha
v_mul_f32 v[vgprValuC+238], s[sgprAlpha], v[vgprValuC+238] // *= alpha
v_mul_f32 v[vgprValuC+239], s[sgprAlpha], v[vgprValuC+239] // *= alpha
v_mul_f32 v[vgprValuC+240], s[sgprAlpha], v[vgprValuC+240] // *= alpha
v_mul_f32 v[vgprValuC+241], s[sgprAlpha], v[vgprValuC+241] // *= alpha
v_mul_f32 v[vgprValuC+242], s[sgprAlpha], v[vgprValuC+242] // *= alpha
v_mul_f32 v[vgprValuC+243], s[sgprAlpha], v[vgprValuC+243] // *= alpha
v_mul_f32 v[vgprValuC+244], s[sgprAlpha], v[vgprValuC+244] // *= alpha
v_mul_f32 v[vgprValuC+245], s[sgprAlpha], v[vgprValuC+245] // *= alpha
v_mul_f32 v[vgprValuC+246], s[sgprAlpha], v[vgprValuC+246] // *= alpha
v_mul_f32 v[vgprValuC+247], s[sgprAlpha], v[vgprValuC+247] // *= alpha
v_mul_f32 v[vgprValuC+248], s[sgprAlpha], v[vgprValuC+248] // *= alpha
v_mul_f32 v[vgprValuC+249], s[sgprAlpha], v[vgprValuC+249] // *= alpha
v_mul_f32 v[vgprValuC+250], s[sgprAlpha], v[vgprValuC+250] // *= alpha
v_mul_f32 v[vgprValuC+251], s[sgprAlpha], v[vgprValuC+251] // *= alpha
v_mul_f32 v[vgprValuC+252], s[sgprAlpha], v[vgprValuC+252] // *= alpha
v_mul_f32 v[vgprValuC+253], s[sgprAlpha], v[vgprValuC+253] // *= alpha
v_mul_f32 v[vgprValuC+254], s[sgprAlpha], v[vgprValuC+254] // *= alpha
v_mul_f32 v[vgprValuC+255], s[sgprAlpha], v[vgprValuC+255] // *= alpha

/* apply mask, calc new C and issue writes */
v_mov_b32 v10, 0x207                               // flag for Nan and +/- inf
v_mov_b32 v8, 0x43700000                           // save 240.0f as max for clipping
v_mov_b32 v9, 0xC3700000                           // save -240.0f as min for clipping
v_cmp_class_f32 s[54:55], v[vgprValuC+14], v10     // check NaN and +/-INF
v_med3_f32 v6, v[vgprValuC+14], v8, v9             // Clipping f32 value if exceeds the limit
v_cndmask_b32 v6, v6, v[vgprValuC+14], s[54:55]    // 
v_cmp_class_f32 s[54:55], v[vgprValuC+15], v10     // check NaN and +/-INF
v_med3_f32 v7, v[vgprValuC+15], v8, v9             // Clipping f32 value if exceeds the limit
v_cndmask_b32 v7, v7, v[vgprValuC+15], s[54:55]    // 
v_cvt_pk_fp8_f32  v14, v6, v7 op_sel:[0,0,0]       // convert two f32 accumulated values to fp8 and save it to lo_16[0:15]
_buffer_store_b16 v14, v11, s[sgprSrdD:sgprSrdD+3], 0, offen, offset:0 // store D
v_cmp_class_f32 s[54:55], v[vgprValuC+16], v10     // check NaN and +/-INF
v_med3_f32 v6, v[vgprValuC+16], v8, v9             // Clipping f32 value if exceeds the limit
v_cndmask_b32 v6, v6, v[vgprValuC+16], s[54:55]    // 
v_cmp_class_f32 s[54:55], v[vgprValuC+17], v10     // check NaN and +/-INF
v_med3_f32 v7, v[vgprValuC+17], v8, v9             // Clipping f32 value if exceeds the limit
v_cndmask_b32 v7, v7, v[vgprValuC+17], s[54:55]    // 
v_cvt_pk_fp8_f32  v16, v6, v7 op_sel:[0,0,0]       // convert two f32 accumulated values to fp8 and save it to lo_16[0:15]
s_lshl_b32  s54, s[sgprStrideD1J], 0               // incToNextRow: Scale by BPE
s_add_u32  s[sgprSrdD+0], s[sgprSrdD+0], s54       // incToNextRow: gra SRD += inc(lower)
s_addc_u32  s[sgprSrdD+1], s[sgprSrdD+1], 0        // incToNextRow: gra SRD += inc(upper)
_buffer_store_b16 v16, v11, s[sgprSrdD:sgprSrdD+3], 0, offen, offset:0 // store D
v_cmp_class_f32 s[54:55], v[vgprValuC+18], v10     // check NaN and +/-INF
v_med3_f32 v6, v[vgprValuC+18], v8, v9             // Clipping f32 value if exceeds the limit
v_cndmask_b32 v6, v6, v[vgprValuC+18], s[54:55]    // 
v_cmp_class_f32 s[54:55], v[vgprValuC+19], v10     // check NaN and +/-INF
v_med3_f32 v7, v[vgprValuC+19], v8, v9             // Clipping f32 value if exceeds the limit
v_cndmask_b32 v7, v7, v[vgprValuC+19], s[54:55]    // 
v_cvt_pk_fp8_f32  v18, v6, v7 op_sel:[0,0,0]       // convert two f32 accumulated values to fp8 and save it to lo_16[0:15]
s_lshl_b32  s54, s[sgprStrideD1J], 0               // incToNextRow: Scale by BPE
s_add_u32  s[sgprSrdD+0], s[sgprSrdD+0], s54       // incToNextRow: gra SRD += inc(lower)
s_addc_u32  s[sgprSrdD+1], s[sgprSrdD+1], 0        // incToNextRow: gra SRD += inc(upper)
	;; [unrolled: 11-line block ×15, first 2 shown]
_buffer_store_b16 v44, v11, s[sgprSrdD:sgprSrdD+3], 0, offen, offset:0 // store D
v_cmp_class_f32 s[54:55], v[vgprValuC+46], v10     // check NaN and +/-INF
v_med3_f32 v6, v[vgprValuC+46], v8, v9             // Clipping f32 value if exceeds the limit
v_cndmask_b32 v6, v6, v[vgprValuC+46], s[54:55]    // 
v_cmp_class_f32 s[54:55], v[vgprValuC+47], v10     // check NaN and +/-INF
v_med3_f32 v7, v[vgprValuC+47], v8, v9             // Clipping f32 value if exceeds the limit
v_cndmask_b32 v7, v7, v[vgprValuC+47], s[54:55]    // 
v_cvt_pk_fp8_f32  v46, v6, v7 op_sel:[0,0,0]       // convert two f32 accumulated values to fp8 and save it to lo_16[0:15]
s_mul_i32 s54, s[sgprStrideD1J], 17                // scale StrideD *= numRows(17) * bpe
s_add_u32  s[sgprSrdD+0], s[sgprSrdD+0], s54       // incToNextRow: gra SRD += inc(lower)
s_addc_u32  s[sgprSrdD+1], s[sgprSrdD+1], 0        // incToNextRow: gra SRD += inc(upper)
_buffer_store_b16 v46, v11, s[sgprSrdD:sgprSrdD+3], 0, offen, offset:0 // store D
v_cmp_class_f32 s[54:55], v[vgprValuC+48], v10     // check NaN and +/-INF
v_med3_f32 v6, v[vgprValuC+48], v8, v9             // Clipping f32 value if exceeds the limit
v_cndmask_b32 v6, v6, v[vgprValuC+48], s[54:55]    // 
v_cmp_class_f32 s[54:55], v[vgprValuC+49], v10     // check NaN and +/-INF
v_med3_f32 v7, v[vgprValuC+49], v8, v9             // Clipping f32 value if exceeds the limit
v_cndmask_b32 v7, v7, v[vgprValuC+49], s[54:55]    // 
v_cvt_pk_fp8_f32  v48, v6, v7 op_sel:[0,0,0]       // convert two f32 accumulated values to fp8 and save it to lo_16[0:15]
s_lshl_b32  s54, s[sgprStrideD1J], 0               // incToNextRow: Scale by BPE
s_add_u32  s[sgprSrdD+0], s[sgprSrdD+0], s54       // incToNextRow: gra SRD += inc(lower)
s_addc_u32  s[sgprSrdD+1], s[sgprSrdD+1], 0        // incToNextRow: gra SRD += inc(upper)
_buffer_store_b16 v48, v11, s[sgprSrdD:sgprSrdD+3], 0, offen, offset:0 // store D
v_cmp_class_f32 s[54:55], v[vgprValuC+50], v10     // check NaN and +/-INF
v_med3_f32 v6, v[vgprValuC+50], v8, v9             // Clipping f32 value if exceeds the limit
v_cndmask_b32 v6, v6, v[vgprValuC+50], s[54:55]    // 
v_cmp_class_f32 s[54:55], v[vgprValuC+51], v10     // check NaN and +/-INF
v_med3_f32 v7, v[vgprValuC+51], v8, v9             // Clipping f32 value if exceeds the limit
v_cndmask_b32 v7, v7, v[vgprValuC+51], s[54:55]    // 
v_cvt_pk_fp8_f32  v50, v6, v7 op_sel:[0,0,0]       // convert two f32 accumulated values to fp8 and save it to lo_16[0:15]
s_lshl_b32  s54, s[sgprStrideD1J], 0               // incToNextRow: Scale by BPE
	;; [unrolled: 11-line block ×15, first 2 shown]
s_add_u32  s[sgprSrdD+0], s[sgprSrdD+0], s54       // incToNextRow: gra SRD += inc(lower)
s_addc_u32  s[sgprSrdD+1], s[sgprSrdD+1], 0        // incToNextRow: gra SRD += inc(upper)
_buffer_store_b16 v76, v11, s[sgprSrdD:sgprSrdD+3], 0, offen, offset:0 // store D
v_cmp_class_f32 s[54:55], v[vgprValuC+78], v10     // check NaN and +/-INF
v_med3_f32 v6, v[vgprValuC+78], v8, v9             // Clipping f32 value if exceeds the limit
v_cndmask_b32 v6, v6, v[vgprValuC+78], s[54:55]    // 
v_cmp_class_f32 s[54:55], v[vgprValuC+79], v10     // check NaN and +/-INF
v_med3_f32 v7, v[vgprValuC+79], v8, v9             // Clipping f32 value if exceeds the limit
v_cndmask_b32 v7, v7, v[vgprValuC+79], s[54:55]    // 
v_cvt_pk_fp8_f32  v78, v6, v7 op_sel:[0,0,0]       // convert two f32 accumulated values to fp8 and save it to lo_16[0:15]
s_mul_i32 s54, s[sgprStrideD1J], 17                // scale StrideD *= numRows(17) * bpe
s_add_u32  s[sgprSrdD+0], s[sgprSrdD+0], s54       // incToNextRow: gra SRD += inc(lower)
s_addc_u32  s[sgprSrdD+1], s[sgprSrdD+1], 0        // incToNextRow: gra SRD += inc(upper)
_buffer_store_b16 v78, v11, s[sgprSrdD:sgprSrdD+3], 0, offen, offset:0 // store D
v_cmp_class_f32 s[54:55], v[vgprValuC+80], v10     // check NaN and +/-INF
v_med3_f32 v6, v[vgprValuC+80], v8, v9             // Clipping f32 value if exceeds the limit
v_cndmask_b32 v6, v6, v[vgprValuC+80], s[54:55]    // 
v_cmp_class_f32 s[54:55], v[vgprValuC+81], v10     // check NaN and +/-INF
v_med3_f32 v7, v[vgprValuC+81], v8, v9             // Clipping f32 value if exceeds the limit
v_cndmask_b32 v7, v7, v[vgprValuC+81], s[54:55]    // 
v_cvt_pk_fp8_f32  v80, v6, v7 op_sel:[0,0,0]       // convert two f32 accumulated values to fp8 and save it to lo_16[0:15]
s_lshl_b32  s54, s[sgprStrideD1J], 0               // incToNextRow: Scale by BPE
s_add_u32  s[sgprSrdD+0], s[sgprSrdD+0], s54       // incToNextRow: gra SRD += inc(lower)
s_addc_u32  s[sgprSrdD+1], s[sgprSrdD+1], 0        // incToNextRow: gra SRD += inc(upper)
_buffer_store_b16 v80, v11, s[sgprSrdD:sgprSrdD+3], 0, offen, offset:0 // store D
v_cmp_class_f32 s[54:55], v[vgprValuC+82], v10     // check NaN and +/-INF
v_med3_f32 v6, v[vgprValuC+82], v8, v9             // Clipping f32 value if exceeds the limit
v_cndmask_b32 v6, v6, v[vgprValuC+82], s[54:55]    // 
v_cmp_class_f32 s[54:55], v[vgprValuC+83], v10     // check NaN and +/-INF
v_med3_f32 v7, v[vgprValuC+83], v8, v9             // Clipping f32 value if exceeds the limit
v_cndmask_b32 v7, v7, v[vgprValuC+83], s[54:55]    // 
v_cvt_pk_fp8_f32  v82, v6, v7 op_sel:[0,0,0]       // convert two f32 accumulated values to fp8 and save it to lo_16[0:15]
s_lshl_b32  s54, s[sgprStrideD1J], 0               // incToNextRow: Scale by BPE
	;; [unrolled: 11-line block ×10, first 2 shown]
s_add_u32  s[sgprSrdD+0], s[sgprSrdD+0], s54       // incToNextRow: gra SRD += inc(lower)
s_addc_u32  s[sgprSrdD+1], s[sgprSrdD+1], 0        // incToNextRow: gra SRD += inc(upper)
_buffer_store_b16 v98, v11, s[sgprSrdD:sgprSrdD+3], 0, offen, offset:0 // store D
v_cmp_class_f32 s[54:55], v[vgprValuC+100], v10    // check NaN and +/-INF
v_med3_f32 v6, v[vgprValuC+100], v8, v9            // Clipping f32 value if exceeds the limit
v_cndmask_b32 v6, v6, v[vgprValuC+100], s[54:55]   // 
v_cmp_class_f32 s[54:55], v[vgprValuC+101], v10    // check NaN and +/-INF
v_med3_f32 v7, v[vgprValuC+101], v8, v9            // Clipping f32 value if exceeds the limit
v_cndmask_b32 v7, v7, v[vgprValuC+101], s[54:55]   // 
v_cvt_pk_fp8_f32  v100, v6, v7 op_sel:[0,0,0]      // convert two f32 accumulated values to fp8 and save it to lo_16[0:15]
s_lshl_b32  s54, s[sgprStrideD1J], 0               // incToNextRow: Scale by BPE
s_add_u32  s[sgprSrdD+0], s[sgprSrdD+0], s54       // incToNextRow: gra SRD += inc(lower)
s_addc_u32  s[sgprSrdD+1], s[sgprSrdD+1], 0        // incToNextRow: gra SRD += inc(upper)
_buffer_store_b16 v100, v11, s[sgprSrdD:sgprSrdD+3], 0, offen, offset:0 // store D
v_cmp_class_f32 s[54:55], v[vgprValuC+102], v10    // check NaN and +/-INF
v_med3_f32 v6, v[vgprValuC+102], v8, v9            // Clipping f32 value if exceeds the limit
v_cndmask_b32 v6, v6, v[vgprValuC+102], s[54:55]   // 
v_cmp_class_f32 s[54:55], v[vgprValuC+103], v10    // check NaN and +/-INF
v_med3_f32 v7, v[vgprValuC+103], v8, v9            // Clipping f32 value if exceeds the limit
v_cndmask_b32 v7, v7, v[vgprValuC+103], s[54:55]   // 
v_cvt_pk_fp8_f32  v102, v6, v7 op_sel:[0,0,0]      // convert two f32 accumulated values to fp8 and save it to lo_16[0:15]
s_lshl_b32  s54, s[sgprStrideD1J], 0               // incToNextRow: Scale by BPE
s_add_u32  s[sgprSrdD+0], s[sgprSrdD+0], s54       // incToNextRow: gra SRD += inc(lower)
s_addc_u32  s[sgprSrdD+1], s[sgprSrdD+1], 0        // incToNextRow: gra SRD += inc(upper)
_buffer_store_b16 v102, v11, s[sgprSrdD:sgprSrdD+3], 0, offen, offset:0 // store D
v_cmp_class_f32 s[54:55], v[vgprValuC+104], v10    // check NaN and +/-INF
v_med3_f32 v6, v[vgprValuC+104], v8, v9            // Clipping f32 value if exceeds the limit
v_cndmask_b32 v6, v6, v[vgprValuC+104], s[54:55]   // 
v_cmp_class_f32 s[54:55], v[vgprValuC+105], v10    // check NaN and +/-INF
v_med3_f32 v7, v[vgprValuC+105], v8, v9            // Clipping f32 value if exceeds the limit
v_cndmask_b32 v7, v7, v[vgprValuC+105], s[54:55]   // 
v_cvt_pk_fp8_f32  v104, v6, v7 op_sel:[0,0,0]      // convert two f32 accumulated values to fp8 and save it to lo_16[0:15]
s_lshl_b32  s54, s[sgprStrideD1J], 0               // incToNextRow: Scale by BPE
s_add_u32  s[sgprSrdD+0], s[sgprSrdD+0], s54       // incToNextRow: gra SRD += inc(lower)
s_addc_u32  s[sgprSrdD+1], s[sgprSrdD+1], 0        // incToNextRow: gra SRD += inc(upper)
_buffer_store_b16 v104, v11, s[sgprSrdD:sgprSrdD+3], 0, offen, offset:0 // store D
v_cmp_class_f32 s[54:55], v[vgprValuC+106], v10    // check NaN and +/-INF
v_med3_f32 v6, v[vgprValuC+106], v8, v9            // Clipping f32 value if exceeds the limit
v_cndmask_b32 v6, v6, v[vgprValuC+106], s[54:55]   // 
v_cmp_class_f32 s[54:55], v[vgprValuC+107], v10    // check NaN and +/-INF
v_med3_f32 v7, v[vgprValuC+107], v8, v9            // Clipping f32 value if exceeds the limit
v_cndmask_b32 v7, v7, v[vgprValuC+107], s[54:55]   // 
v_cvt_pk_fp8_f32  v106, v6, v7 op_sel:[0,0,0]      // convert two f32 accumulated values to fp8 and save it to lo_16[0:15]
s_lshl_b32  s54, s[sgprStrideD1J], 0               // incToNextRow: Scale by BPE
s_add_u32  s[sgprSrdD+0], s[sgprSrdD+0], s54       // incToNextRow: gra SRD += inc(lower)
s_addc_u32  s[sgprSrdD+1], s[sgprSrdD+1], 0        // incToNextRow: gra SRD += inc(upper)
_buffer_store_b16 v106, v11, s[sgprSrdD:sgprSrdD+3], 0, offen, offset:0 // store D
v_cmp_class_f32 s[54:55], v[vgprValuC+108], v10    // check NaN and +/-INF
v_med3_f32 v6, v[vgprValuC+108], v8, v9            // Clipping f32 value if exceeds the limit
v_cndmask_b32 v6, v6, v[vgprValuC+108], s[54:55]   // 
v_cmp_class_f32 s[54:55], v[vgprValuC+109], v10    // check NaN and +/-INF
v_med3_f32 v7, v[vgprValuC+109], v8, v9            // Clipping f32 value if exceeds the limit
v_cndmask_b32 v7, v7, v[vgprValuC+109], s[54:55]   // 
v_cvt_pk_fp8_f32  v108, v6, v7 op_sel:[0,0,0]      // convert two f32 accumulated values to fp8 and save it to lo_16[0:15]
s_lshl_b32  s54, s[sgprStrideD1J], 0               // incToNextRow: Scale by BPE
s_add_u32  s[sgprSrdD+0], s[sgprSrdD+0], s54       // incToNextRow: gra SRD += inc(lower)
s_addc_u32  s[sgprSrdD+1], s[sgprSrdD+1], 0        // incToNextRow: gra SRD += inc(upper)
_buffer_store_b16 v108, v11, s[sgprSrdD:sgprSrdD+3], 0, offen, offset:0 // store D
v_cmp_class_f32 s[54:55], v[vgprValuC+110], v10    // check NaN and +/-INF
v_med3_f32 v6, v[vgprValuC+110], v8, v9            // Clipping f32 value if exceeds the limit
v_cndmask_b32 v6, v6, v[vgprValuC+110], s[54:55]   // 
v_cmp_class_f32 s[54:55], v[vgprValuC+111], v10    // check NaN and +/-INF
v_med3_f32 v7, v[vgprValuC+111], v8, v9            // Clipping f32 value if exceeds the limit
v_cndmask_b32 v7, v7, v[vgprValuC+111], s[54:55]   // 
v_cvt_pk_fp8_f32  v110, v6, v7 op_sel:[0,0,0]      // convert two f32 accumulated values to fp8 and save it to lo_16[0:15]
s_mul_i32 s54, s[sgprStrideD1J], 17                // scale StrideD *= numRows(17) * bpe
s_add_u32  s[sgprSrdD+0], s[sgprSrdD+0], s54       // incToNextRow: gra SRD += inc(lower)
s_addc_u32  s[sgprSrdD+1], s[sgprSrdD+1], 0        // incToNextRow: gra SRD += inc(upper)
_buffer_store_b16 v110, v11, s[sgprSrdD:sgprSrdD+3], 0, offen, offset:0 // store D
v_cmp_class_f32 s[54:55], v[vgprValuC+112], v10    // check NaN and +/-INF
v_med3_f32 v6, v[vgprValuC+112], v8, v9            // Clipping f32 value if exceeds the limit
v_cndmask_b32 v6, v6, v[vgprValuC+112], s[54:55]   // 
v_cmp_class_f32 s[54:55], v[vgprValuC+113], v10    // check NaN and +/-INF
v_med3_f32 v7, v[vgprValuC+113], v8, v9            // Clipping f32 value if exceeds the limit
v_cndmask_b32 v7, v7, v[vgprValuC+113], s[54:55]   // 
v_cvt_pk_fp8_f32  v112, v6, v7 op_sel:[0,0,0]      // convert two f32 accumulated values to fp8 and save it to lo_16[0:15]
s_lshl_b32  s54, s[sgprStrideD1J], 0               // incToNextRow: Scale by BPE
s_add_u32  s[sgprSrdD+0], s[sgprSrdD+0], s54       // incToNextRow: gra SRD += inc(lower)
s_addc_u32  s[sgprSrdD+1], s[sgprSrdD+1], 0        // incToNextRow: gra SRD += inc(upper)
_buffer_store_b16 v112, v11, s[sgprSrdD:sgprSrdD+3], 0, offen, offset:0 // store D
v_cmp_class_f32 s[54:55], v[vgprValuC+114], v10    // check NaN and +/-INF
v_med3_f32 v6, v[vgprValuC+114], v8, v9            // Clipping f32 value if exceeds the limit
v_cndmask_b32 v6, v6, v[vgprValuC+114], s[54:55]   // 
v_cmp_class_f32 s[54:55], v[vgprValuC+115], v10    // check NaN and +/-INF
v_med3_f32 v7, v[vgprValuC+115], v8, v9            // Clipping f32 value if exceeds the limit
v_cndmask_b32 v7, v7, v[vgprValuC+115], s[54:55]   // 
v_cvt_pk_fp8_f32  v114, v6, v7 op_sel:[0,0,0]      // convert two f32 accumulated values to fp8 and save it to lo_16[0:15]
s_lshl_b32  s54, s[sgprStrideD1J], 0               // incToNextRow: Scale by BPE
	;; [unrolled: 11-line block ×15, first 2 shown]
s_add_u32  s[sgprSrdD+0], s[sgprSrdD+0], s54       // incToNextRow: gra SRD += inc(lower)
s_addc_u32  s[sgprSrdD+1], s[sgprSrdD+1], 0        // incToNextRow: gra SRD += inc(upper)
_buffer_store_b16 v144, v11, s[sgprSrdD:sgprSrdD+3], 0, offen, offset:0 // store D
v_cmp_class_f32 s[54:55], v[vgprValuC+146], v10    // check NaN and +/-INF
v_med3_f32 v6, v[vgprValuC+146], v8, v9            // Clipping f32 value if exceeds the limit
v_cndmask_b32 v6, v6, v[vgprValuC+146], s[54:55]   // 
v_cmp_class_f32 s[54:55], v[vgprValuC+147], v10    // check NaN and +/-INF
v_med3_f32 v7, v[vgprValuC+147], v8, v9            // Clipping f32 value if exceeds the limit
v_cndmask_b32 v7, v7, v[vgprValuC+147], s[54:55]   // 
v_cvt_pk_fp8_f32  v146, v6, v7 op_sel:[0,0,0]      // convert two f32 accumulated values to fp8 and save it to lo_16[0:15]
s_mul_i32 s54, s[sgprStrideD1J], 17                // scale StrideD *= numRows(17) * bpe
s_add_u32  s[sgprSrdD+0], s[sgprSrdD+0], s54       // incToNextRow: gra SRD += inc(lower)
s_addc_u32  s[sgprSrdD+1], s[sgprSrdD+1], 0        // incToNextRow: gra SRD += inc(upper)
_buffer_store_b16 v146, v11, s[sgprSrdD:sgprSrdD+3], 0, offen, offset:0 // store D
v_cmp_class_f32 s[54:55], v[vgprValuC+148], v10    // check NaN and +/-INF
v_med3_f32 v6, v[vgprValuC+148], v8, v9            // Clipping f32 value if exceeds the limit
v_cndmask_b32 v6, v6, v[vgprValuC+148], s[54:55]   // 
v_cmp_class_f32 s[54:55], v[vgprValuC+149], v10    // check NaN and +/-INF
v_med3_f32 v7, v[vgprValuC+149], v8, v9            // Clipping f32 value if exceeds the limit
v_cndmask_b32 v7, v7, v[vgprValuC+149], s[54:55]   // 
v_cvt_pk_fp8_f32  v148, v6, v7 op_sel:[0,0,0]      // convert two f32 accumulated values to fp8 and save it to lo_16[0:15]
s_lshl_b32  s54, s[sgprStrideD1J], 0               // incToNextRow: Scale by BPE
s_add_u32  s[sgprSrdD+0], s[sgprSrdD+0], s54       // incToNextRow: gra SRD += inc(lower)
s_addc_u32  s[sgprSrdD+1], s[sgprSrdD+1], 0        // incToNextRow: gra SRD += inc(upper)
_buffer_store_b16 v148, v11, s[sgprSrdD:sgprSrdD+3], 0, offen, offset:0 // store D
v_cmp_class_f32 s[54:55], v[vgprValuC+150], v10    // check NaN and +/-INF
v_med3_f32 v6, v[vgprValuC+150], v8, v9            // Clipping f32 value if exceeds the limit
v_cndmask_b32 v6, v6, v[vgprValuC+150], s[54:55]   // 
v_cmp_class_f32 s[54:55], v[vgprValuC+151], v10    // check NaN and +/-INF
v_med3_f32 v7, v[vgprValuC+151], v8, v9            // Clipping f32 value if exceeds the limit
v_cndmask_b32 v7, v7, v[vgprValuC+151], s[54:55]   // 
v_cvt_pk_fp8_f32  v150, v6, v7 op_sel:[0,0,0]      // convert two f32 accumulated values to fp8 and save it to lo_16[0:15]
s_lshl_b32  s54, s[sgprStrideD1J], 0               // incToNextRow: Scale by BPE
	;; [unrolled: 11-line block ×15, first 2 shown]
s_add_u32  s[sgprSrdD+0], s[sgprSrdD+0], s54       // incToNextRow: gra SRD += inc(lower)
s_addc_u32  s[sgprSrdD+1], s[sgprSrdD+1], 0        // incToNextRow: gra SRD += inc(upper)
_buffer_store_b16 v176, v11, s[sgprSrdD:sgprSrdD+3], 0, offen, offset:0 // store D
v_cmp_class_f32 s[54:55], v[vgprValuC+178], v10    // check NaN and +/-INF
v_med3_f32 v6, v[vgprValuC+178], v8, v9            // Clipping f32 value if exceeds the limit
v_cndmask_b32 v6, v6, v[vgprValuC+178], s[54:55]   // 
v_cmp_class_f32 s[54:55], v[vgprValuC+179], v10    // check NaN and +/-INF
v_med3_f32 v7, v[vgprValuC+179], v8, v9            // Clipping f32 value if exceeds the limit
v_cndmask_b32 v7, v7, v[vgprValuC+179], s[54:55]   // 
v_cvt_pk_fp8_f32  v178, v6, v7 op_sel:[0,0,0]      // convert two f32 accumulated values to fp8 and save it to lo_16[0:15]
s_mul_i32 s54, s[sgprStrideD1J], 17                // scale StrideD *= numRows(17) * bpe
s_add_u32  s[sgprSrdD+0], s[sgprSrdD+0], s54       // incToNextRow: gra SRD += inc(lower)
s_addc_u32  s[sgprSrdD+1], s[sgprSrdD+1], 0        // incToNextRow: gra SRD += inc(upper)
_buffer_store_b16 v178, v11, s[sgprSrdD:sgprSrdD+3], 0, offen, offset:0 // store D
v_cmp_class_f32 s[54:55], v[vgprValuC+180], v10    // check NaN and +/-INF
v_med3_f32 v6, v[vgprValuC+180], v8, v9            // Clipping f32 value if exceeds the limit
v_cndmask_b32 v6, v6, v[vgprValuC+180], s[54:55]   // 
v_cmp_class_f32 s[54:55], v[vgprValuC+181], v10    // check NaN and +/-INF
v_med3_f32 v7, v[vgprValuC+181], v8, v9            // Clipping f32 value if exceeds the limit
v_cndmask_b32 v7, v7, v[vgprValuC+181], s[54:55]   // 
v_cvt_pk_fp8_f32  v180, v6, v7 op_sel:[0,0,0]      // convert two f32 accumulated values to fp8 and save it to lo_16[0:15]
s_lshl_b32  s54, s[sgprStrideD1J], 0               // incToNextRow: Scale by BPE
s_add_u32  s[sgprSrdD+0], s[sgprSrdD+0], s54       // incToNextRow: gra SRD += inc(lower)
s_addc_u32  s[sgprSrdD+1], s[sgprSrdD+1], 0        // incToNextRow: gra SRD += inc(upper)
_buffer_store_b16 v180, v11, s[sgprSrdD:sgprSrdD+3], 0, offen, offset:0 // store D
v_cmp_class_f32 s[54:55], v[vgprValuC+182], v10    // check NaN and +/-INF
v_med3_f32 v6, v[vgprValuC+182], v8, v9            // Clipping f32 value if exceeds the limit
v_cndmask_b32 v6, v6, v[vgprValuC+182], s[54:55]   // 
v_cmp_class_f32 s[54:55], v[vgprValuC+183], v10    // check NaN and +/-INF
v_med3_f32 v7, v[vgprValuC+183], v8, v9            // Clipping f32 value if exceeds the limit
v_cndmask_b32 v7, v7, v[vgprValuC+183], s[54:55]   // 
v_cvt_pk_fp8_f32  v182, v6, v7 op_sel:[0,0,0]      // convert two f32 accumulated values to fp8 and save it to lo_16[0:15]
s_lshl_b32  s54, s[sgprStrideD1J], 0               // incToNextRow: Scale by BPE
	;; [unrolled: 11-line block ×15, first 2 shown]
s_add_u32  s[sgprSrdD+0], s[sgprSrdD+0], s54       // incToNextRow: gra SRD += inc(lower)
s_addc_u32  s[sgprSrdD+1], s[sgprSrdD+1], 0        // incToNextRow: gra SRD += inc(upper)
_buffer_store_b16 v208, v11, s[sgprSrdD:sgprSrdD+3], 0, offen, offset:0 // store D
v_cmp_class_f32 s[54:55], v[vgprValuC+210], v10    // check NaN and +/-INF
v_med3_f32 v6, v[vgprValuC+210], v8, v9            // Clipping f32 value if exceeds the limit
v_cndmask_b32 v6, v6, v[vgprValuC+210], s[54:55]   // 
v_cmp_class_f32 s[54:55], v[vgprValuC+211], v10    // check NaN and +/-INF
v_med3_f32 v7, v[vgprValuC+211], v8, v9            // Clipping f32 value if exceeds the limit
v_cndmask_b32 v7, v7, v[vgprValuC+211], s[54:55]   // 
v_cvt_pk_fp8_f32  v210, v6, v7 op_sel:[0,0,0]      // convert two f32 accumulated values to fp8 and save it to lo_16[0:15]
s_mul_i32 s54, s[sgprStrideD1J], 17                // scale StrideD *= numRows(17) * bpe
s_add_u32  s[sgprSrdD+0], s[sgprSrdD+0], s54       // incToNextRow: gra SRD += inc(lower)
s_addc_u32  s[sgprSrdD+1], s[sgprSrdD+1], 0        // incToNextRow: gra SRD += inc(upper)
_buffer_store_b16 v210, v11, s[sgprSrdD:sgprSrdD+3], 0, offen, offset:0 // store D
v_cmp_class_f32 s[54:55], v[vgprValuC+212], v10    // check NaN and +/-INF
v_med3_f32 v6, v[vgprValuC+212], v8, v9            // Clipping f32 value if exceeds the limit
v_cndmask_b32 v6, v6, v[vgprValuC+212], s[54:55]   // 
v_cmp_class_f32 s[54:55], v[vgprValuC+213], v10    // check NaN and +/-INF
v_med3_f32 v7, v[vgprValuC+213], v8, v9            // Clipping f32 value if exceeds the limit
v_cndmask_b32 v7, v7, v[vgprValuC+213], s[54:55]   // 
v_cvt_pk_fp8_f32  v212, v6, v7 op_sel:[0,0,0]      // convert two f32 accumulated values to fp8 and save it to lo_16[0:15]
s_lshl_b32  s54, s[sgprStrideD1J], 0               // incToNextRow: Scale by BPE
s_add_u32  s[sgprSrdD+0], s[sgprSrdD+0], s54       // incToNextRow: gra SRD += inc(lower)
s_addc_u32  s[sgprSrdD+1], s[sgprSrdD+1], 0        // incToNextRow: gra SRD += inc(upper)
_buffer_store_b16 v212, v11, s[sgprSrdD:sgprSrdD+3], 0, offen, offset:0 // store D
v_cmp_class_f32 s[54:55], v[vgprValuC+214], v10    // check NaN and +/-INF
v_med3_f32 v6, v[vgprValuC+214], v8, v9            // Clipping f32 value if exceeds the limit
v_cndmask_b32 v6, v6, v[vgprValuC+214], s[54:55]   // 
v_cmp_class_f32 s[54:55], v[vgprValuC+215], v10    // check NaN and +/-INF
v_med3_f32 v7, v[vgprValuC+215], v8, v9            // Clipping f32 value if exceeds the limit
v_cndmask_b32 v7, v7, v[vgprValuC+215], s[54:55]   // 
v_cvt_pk_fp8_f32  v214, v6, v7 op_sel:[0,0,0]      // convert two f32 accumulated values to fp8 and save it to lo_16[0:15]
s_lshl_b32  s54, s[sgprStrideD1J], 0               // incToNextRow: Scale by BPE
	;; [unrolled: 11-line block ×15, first 2 shown]
s_add_u32  s[sgprSrdD+0], s[sgprSrdD+0], s54       // incToNextRow: gra SRD += inc(lower)
s_addc_u32  s[sgprSrdD+1], s[sgprSrdD+1], 0        // incToNextRow: gra SRD += inc(upper)
_buffer_store_b16 v240, v11, s[sgprSrdD:sgprSrdD+3], 0, offen, offset:0 // store D
v_cmp_class_f32 s[54:55], v[vgprValuC+242], v10    // check NaN and +/-INF
v_med3_f32 v6, v[vgprValuC+242], v8, v9            // Clipping f32 value if exceeds the limit
v_cndmask_b32 v6, v6, v[vgprValuC+242], s[54:55]   // 
v_cmp_class_f32 s[54:55], v[vgprValuC+243], v10    // check NaN and +/-INF
v_med3_f32 v7, v[vgprValuC+243], v8, v9            // Clipping f32 value if exceeds the limit
v_cndmask_b32 v7, v7, v[vgprValuC+243], s[54:55]   // 
v_cvt_pk_fp8_f32  v242, v6, v7 op_sel:[0,0,0]      // convert two f32 accumulated values to fp8 and save it to lo_16[0:15]
s_mul_i32 s54, s[sgprStrideD1J], 17                // scale StrideD *= numRows(17) * bpe
s_add_u32  s[sgprSrdD+0], s[sgprSrdD+0], s54       // incToNextRow: gra SRD += inc(lower)
s_addc_u32  s[sgprSrdD+1], s[sgprSrdD+1], 0        // incToNextRow: gra SRD += inc(upper)
_buffer_store_b16 v242, v11, s[sgprSrdD:sgprSrdD+3], 0, offen, offset:0 // store D
v_cmp_class_f32 s[54:55], v[vgprValuC+244], v10    // check NaN and +/-INF
v_med3_f32 v6, v[vgprValuC+244], v8, v9            // Clipping f32 value if exceeds the limit
v_cndmask_b32 v6, v6, v[vgprValuC+244], s[54:55]   // 
v_cmp_class_f32 s[54:55], v[vgprValuC+245], v10    // check NaN and +/-INF
v_med3_f32 v7, v[vgprValuC+245], v8, v9            // Clipping f32 value if exceeds the limit
v_cndmask_b32 v7, v7, v[vgprValuC+245], s[54:55]   // 
v_cvt_pk_fp8_f32  v244, v6, v7 op_sel:[0,0,0]      // convert two f32 accumulated values to fp8 and save it to lo_16[0:15]
s_lshl_b32  s54, s[sgprStrideD1J], 0               // incToNextRow: Scale by BPE
s_add_u32  s[sgprSrdD+0], s[sgprSrdD+0], s54       // incToNextRow: gra SRD += inc(lower)
s_addc_u32  s[sgprSrdD+1], s[sgprSrdD+1], 0        // incToNextRow: gra SRD += inc(upper)
_buffer_store_b16 v244, v11, s[sgprSrdD:sgprSrdD+3], 0, offen, offset:0 // store D
v_cmp_class_f32 s[54:55], v[vgprValuC+246], v10    // check NaN and +/-INF
v_med3_f32 v6, v[vgprValuC+246], v8, v9            // Clipping f32 value if exceeds the limit
v_cndmask_b32 v6, v6, v[vgprValuC+246], s[54:55]   // 
v_cmp_class_f32 s[54:55], v[vgprValuC+247], v10    // check NaN and +/-INF
v_med3_f32 v7, v[vgprValuC+247], v8, v9            // Clipping f32 value if exceeds the limit
v_cndmask_b32 v7, v7, v[vgprValuC+247], s[54:55]   // 
v_cvt_pk_fp8_f32  v246, v6, v7 op_sel:[0,0,0]      // convert two f32 accumulated values to fp8 and save it to lo_16[0:15]
s_lshl_b32  s54, s[sgprStrideD1J], 0               // incToNextRow: Scale by BPE
	;; [unrolled: 11-line block ×6, first 2 shown]
s_add_u32  s[sgprSrdD+0], s[sgprSrdD+0], s54       // incToNextRow: gra SRD += inc(lower)
s_addc_u32  s[sgprSrdD+1], s[sgprSrdD+1], 0        // incToNextRow: gra SRD += inc(upper)
_buffer_store_b16 v254, v11, s[sgprSrdD:sgprSrdD+3], 0, offen, offset:0 // store D
s_nop 0                                            // 1 wait state required when next inst writes vgprs held by previous dwordx4 store inst
/* optSingleColVgpr=1 optSharedColVgpr=0 optSGPRUsage=BufferLoad_Mask optSrdIncForRow=1 */

/******************************************/
/* Global Write Alpha Batch #1 (d1,d0,vc1,vc0) = */
/*    (7,0,7,0:vw2); (7,0,8,0:vw2); (7,0,9,0:vw2); (7,0,10,0:vw2); (7,0,11,0:vw2); (7,0,12,0:vw2); (7,0,13,0:vw2); (7,0,14,0:vw2); (7,0,15,0:vw2) */
/******************************************/

/* calc coords, apply mask, and issue loads (if necessary) */
/* (d1,vc1,d0,vc0)=(7,7,0,0) */
/* (d1,vc1,d0,vc0)=(7,8,0,0) */
	;; [unrolled: 1-line block ×9, first 2 shown]
v_accvgpr_read_b32 v[vgprValuC+14], acc237 // copy acc to vreg[238]
v_accvgpr_read_b32 v[vgprValuC+15], acc253 // copy acc to vreg[239]
v_accvgpr_read_b32 v[vgprValuC+16], acc142 // copy acc to vreg[240]
v_accvgpr_read_b32 v[vgprValuC+17], acc158 // copy acc to vreg[241]
v_accvgpr_read_b32 v[vgprValuC+18], acc174 // copy acc to vreg[242]
v_accvgpr_read_b32 v[vgprValuC+19], acc190 // copy acc to vreg[243]
v_accvgpr_read_b32 v[vgprValuC+20], acc206 // copy acc to vreg[244]
v_accvgpr_read_b32 v[vgprValuC+21], acc222 // copy acc to vreg[245]
v_accvgpr_read_b32 v[vgprValuC+22], acc238 // copy acc to vreg[246]
v_accvgpr_read_b32 v[vgprValuC+23], acc254 // copy acc to vreg[247]
v_accvgpr_read_b32 v[vgprValuC+24], acc143 // copy acc to vreg[248]
v_accvgpr_read_b32 v[vgprValuC+25], acc159 // copy acc to vreg[249]
v_accvgpr_read_b32 v[vgprValuC+26], acc175 // copy acc to vreg[250]
v_accvgpr_read_b32 v[vgprValuC+27], acc191 // copy acc to vreg[251]
v_accvgpr_read_b32 v[vgprValuC+28], acc207 // copy acc to vreg[252]
v_accvgpr_read_b32 v[vgprValuC+29], acc223 // copy acc to vreg[253]
v_accvgpr_read_b32 v[vgprValuC+30], acc239 // copy acc to vreg[254]
v_accvgpr_read_b32 v[vgprValuC+31], acc255 // copy acc to vreg[255]
s_nop 1                                            // 2 wait states required before reading vgpr

/* rC *= alpha batchElements=[(7, 0, 7, 0), (7, 0, 8, 0), (7, 0, 9, 0), (7, 0, 10, 0), (7, 0, 11, 0), (7, 0, 12, 0), (7, 0, 13, 0), (7, 0, 14, 0), (7, 0, 15, 0)] */
v_mul_f32 v[vgprValuC+14], s[sgprAlpha], v[vgprValuC+14] // *= alpha
v_mul_f32 v[vgprValuC+15], s[sgprAlpha], v[vgprValuC+15] // *= alpha
	;; [unrolled: 1-line block ×18, first 2 shown]

/* apply mask, calc new C and issue writes */
v_mov_b32 v10, 0x207                               // flag for Nan and +/- inf
v_mov_b32 v8, 0x43700000                           // save 240.0f as max for clipping
v_mov_b32 v9, 0xC3700000                           // save -240.0f as min for clipping
v_cmp_class_f32 s[54:55], v[vgprValuC+14], v10     // check NaN and +/-INF
v_med3_f32 v6, v[vgprValuC+14], v8, v9             // Clipping f32 value if exceeds the limit
v_cndmask_b32 v6, v6, v[vgprValuC+14], s[54:55]    // 
v_cmp_class_f32 s[54:55], v[vgprValuC+15], v10     // check NaN and +/-INF
v_med3_f32 v7, v[vgprValuC+15], v8, v9             // Clipping f32 value if exceeds the limit
v_cndmask_b32 v7, v7, v[vgprValuC+15], s[54:55]    // 
v_cvt_pk_fp8_f32  v14, v6, v7 op_sel:[0,0,0]       // convert two f32 accumulated values to fp8 and save it to lo_16[0:15]
s_lshl_b32  s54, s[sgprStrideD1J], 0               // incToNextRow: Scale by BPE
s_add_u32  s[sgprSrdD+0], s[sgprSrdD+0], s54       // incToNextRow: gra SRD += inc(lower)
s_addc_u32  s[sgprSrdD+1], s[sgprSrdD+1], 0        // incToNextRow: gra SRD += inc(upper)
_buffer_store_b16 v14, v11, s[sgprSrdD:sgprSrdD+3], 0, offen, offset:0 // store D
v_cmp_class_f32 s[54:55], v[vgprValuC+16], v10     // check NaN and +/-INF
v_med3_f32 v6, v[vgprValuC+16], v8, v9             // Clipping f32 value if exceeds the limit
v_cndmask_b32 v6, v6, v[vgprValuC+16], s[54:55]    // 
v_cmp_class_f32 s[54:55], v[vgprValuC+17], v10     // check NaN and +/-INF
v_med3_f32 v7, v[vgprValuC+17], v8, v9             // Clipping f32 value if exceeds the limit
v_cndmask_b32 v7, v7, v[vgprValuC+17], s[54:55]    // 
v_cvt_pk_fp8_f32  v16, v6, v7 op_sel:[0,0,0]       // convert two f32 accumulated values to fp8 and save it to lo_16[0:15]
s_lshl_b32  s54, s[sgprStrideD1J], 0               // incToNextRow: Scale by BPE
s_add_u32  s[sgprSrdD+0], s[sgprSrdD+0], s54       // incToNextRow: gra SRD += inc(lower)
s_addc_u32  s[sgprSrdD+1], s[sgprSrdD+1], 0        // incToNextRow: gra SRD += inc(upper)
_buffer_store_b16 v16, v11, s[sgprSrdD:sgprSrdD+3], 0, offen, offset:0 // store D
	;; [unrolled: 11-line block ×9, first 2 shown]
s_nop 0                                            // 1 wait state required when next inst writes vgprs held by previous dwordx4 store inst
s_branch label_GW_End_44                           // jump to end
GW_B0_E1_36:

/* edge=1, allocate 6 sgpr. perBatchTmpS=4 perBatchMaskS=2 perElementMaskS=0 elementsPerBatch=120 */
/* optSingleColVgpr=0 optSharedColVgpr=0 optSGPRUsage=BufferLoad_Edge_Mask optSrdIncForRow=0 */

/******************************************/
/* Global Write Alpha Edge Batch #0 (d1,d0,vc1,vc0) = */
/*    (0,0,0,0:vw1); (0,0,0,1:vw1); (0,0,1,0:vw1); (0,0,1,1:vw1); (0,0,2,0:vw1); (0,0,2,1:vw1); (0,0,3,0:vw1); (0,0,3,1:vw1); (0,0,4,0:vw1); (0,0,4,1:vw1); (0,0,5,0:vw1); (0,0,5,1:vw1); (0,0,6,0:vw1); (0,0,6,1:vw1); (0,0,7,0:vw1); (0,0,7,1:vw1); (0,0,8,0:vw1); (0,0,8,1:vw1); (0,0,9,0:vw1); (0,0,9,1:vw1); (0,0,10,0:vw1); (0,0,10,1:vw1); (0,0,11,0:vw1); (0,0,11,1:vw1); (0,0,12,0:vw1); (0,0,12,1:vw1); (0,0,13,0:vw1); (0,0,13,1:vw1); (0,0,14,0:vw1); (0,0,14,1:vw1); (0,0,15,0:vw1); (0,0,15,1:vw1); (1,0,0,0:vw1); (1,0,0,1:vw1); (1,0,1,0:vw1); (1,0,1,1:vw1); (1,0,2,0:vw1); (1,0,2,1:vw1); (1,0,3,0:vw1); (1,0,3,1:vw1); (1,0,4,0:vw1); (1,0,4,1:vw1); (1,0,5,0:vw1); (1,0,5,1:vw1); (1,0,6,0:vw1); (1,0,6,1:vw1); (1,0,7,0:vw1); (1,0,7,1:vw1); (1,0,8,0:vw1); (1,0,8,1:vw1); (1,0,9,0:vw1); (1,0,9,1:vw1); (1,0,10,0:vw1); (1,0,10,1:vw1); (1,0,11,0:vw1); (1,0,11,1:vw1); (1,0,12,0:vw1); (1,0,12,1:vw1); (1,0,13,0:vw1); (1,0,13,1:vw1); (1,0,14,0:vw1); (1,0,14,1:vw1); (1,0,15,0:vw1); (1,0,15,1:vw1); (2,0,0,0:vw1); (2,0,0,1:vw1); (2,0,1,0:vw1); (2,0,1,1:vw1); (2,0,2,0:vw1); (2,0,2,1:vw1); (2,0,3,0:vw1); (2,0,3,1:vw1); (2,0,4,0:vw1); (2,0,4,1:vw1); (2,0,5,0:vw1); (2,0,5,1:vw1); (2,0,6,0:vw1); (2,0,6,1:vw1); (2,0,7,0:vw1); (2,0,7,1:vw1); (2,0,8,0:vw1); (2,0,8,1:vw1); (2,0,9,0:vw1); (2,0,9,1:vw1); (2,0,10,0:vw1); (2,0,10,1:vw1); (2,0,11,0:vw1); (2,0,11,1:vw1); (2,0,12,0:vw1); (2,0,12,1:vw1); (2,0,13,0:vw1); (2,0,13,1:vw1); (2,0,14,0:vw1); (2,0,14,1:vw1); (2,0,15,0:vw1); (2,0,15,1:vw1); (3,0,0,0:vw1); (3,0,0,1:vw1); (3,0,1,0:vw1); (3,0,1,1:vw1); (3,0,2,0:vw1); (3,0,2,1:vw1); (3,0,3,0:vw1); (3,0,3,1:vw1); (3,0,4,0:vw1); (3,0,4,1:vw1); (3,0,5,0:vw1); (3,0,5,1:vw1); (3,0,6,0:vw1); (3,0,6,1:vw1); (3,0,7,0:vw1); (3,0,7,1:vw1); (3,0,8,0:vw1); (3,0,8,1:vw1); (3,0,9,0:vw1); (3,0,9,1:vw1); (3,0,10,0:vw1); (3,0,10,1:vw1); (3,0,11,0:vw1); (3,0,11,1:vw1) */
/******************************************/

/* calc coords, apply mask, and issue loads (if necessary) */
/* (d1,vc1,d0,vc0)=(0,0,0,0) */
v_cmp_lt_u32 s[54:55], v0, s[sgprSizeI]            // coord0 < size0
v_cmp_lt_u32 s[58:59], v1, s[sgprSizeJ]            // coord1 < size1
s_and_b64 s[58:59], s[54:55], s[58:59]             // in0 && in1
_v_add_lshl_u32 v11, v3, v0, 0x0                   // scaleToBpe: accumulate d0 lower and *= bpe into Cin addr
v_cndmask_b32 v11, -1, v11, s[58:59]               // LDD clip if OOB. offset
/* (d1,vc1,d0,vc0)=(0,0,0,1) */
_v_add_co_u32 v4, vcc, v0, 1                       // coord0.1: coord0 += d0*sg0*VW + vc0
v_cmp_lt_u32 s[54:55], v4, s[sgprSizeI]            // coord0 < size0
v_cmp_lt_u32 s[58:59], v1, s[sgprSizeJ]            // coord1 < size1
s_and_b64 s[58:59], s[54:55], s[58:59]             // in0 && in1
_v_add_lshl_u32 v13, v3, v4, 0x0                   // scaleToBpe: accumulate d0 lower and *= bpe into Cin addr
v_cndmask_b32 v13, -1, v13, s[58:59]               // LDD clip if OOB. offset
/* (d1,vc1,d0,vc0)=(0,1,0,0) */
_v_add_co_u32 v1, vcc, v1, 1                       // coord1.1: coord1Vgpr += d1*sg1*VW + vc1

/* Fix for UseInitialStridesCD, emitAddressSetupCode */
_v_add_u32 v2, v2, s[sgprStrideC1J]                // ROWINC- Move cinRowPtr to next row
_v_add_u32 v3, v3, s[sgprStrideD1J]                // Move coutRowPtr to next row
v_cmp_lt_u32 s[54:55], v0, s[sgprSizeI]            // coord0 < size0
v_cmp_lt_u32 s[58:59], v1, s[sgprSizeJ]            // coord1 < size1
s_and_b64 s[58:59], s[54:55], s[58:59]             // in0 && in1
_v_add_lshl_u32 v15, v3, v0, 0x0                   // scaleToBpe: accumulate d0 lower and *= bpe into Cin addr
v_cndmask_b32 v15, -1, v15, s[58:59]               // LDD clip if OOB. offset
/* (d1,vc1,d0,vc0)=(0,1,0,1) */
_v_add_co_u32 v4, vcc, v0, 1                       // coord0.1: coord0 += d0*sg0*VW + vc0
v_cmp_lt_u32 s[54:55], v4, s[sgprSizeI]            // coord0 < size0
v_cmp_lt_u32 s[58:59], v1, s[sgprSizeJ]            // coord1 < size1
s_and_b64 s[58:59], s[54:55], s[58:59]             // in0 && in1
_v_add_lshl_u32 v17, v3, v4, 0x0                   // scaleToBpe: accumulate d0 lower and *= bpe into Cin addr
v_cndmask_b32 v17, -1, v17, s[58:59]               // LDD clip if OOB. offset
/* (d1,vc1,d0,vc0)=(0,2,0,0) */
_v_add_co_u32 v1, vcc, v1, 1                       // coord1.1: coord1Vgpr += d1*sg1*VW + vc1

/* Fix for UseInitialStridesCD, emitAddressSetupCode */
_v_add_u32 v2, v2, s[sgprStrideC1J]                // ROWINC- Move cinRowPtr to next row
_v_add_u32 v3, v3, s[sgprStrideD1J]                // Move coutRowPtr to next row
	;; [unrolled: 18-line block ×15, first 2 shown]
v_cmp_lt_u32 s[54:55], v0, s[sgprSizeI]            // coord0 < size0
v_cmp_lt_u32 s[58:59], v1, s[sgprSizeJ]            // coord1 < size1
s_and_b64 s[58:59], s[54:55], s[58:59]             // in0 && in1
_v_add_lshl_u32 v71, v3, v0, 0x0                   // scaleToBpe: accumulate d0 lower and *= bpe into Cin addr
v_cndmask_b32 v71, -1, v71, s[58:59]               // LDD clip if OOB. offset
/* (d1,vc1,d0,vc0)=(0,15,0,1) */
_v_add_co_u32 v4, vcc, v0, 1                       // coord0.1: coord0 += d0*sg0*VW + vc0
v_cmp_lt_u32 s[54:55], v4, s[sgprSizeI]            // coord0 < size0
v_cmp_lt_u32 s[58:59], v1, s[sgprSizeJ]            // coord1 < size1
s_and_b64 s[58:59], s[54:55], s[58:59]             // in0 && in1
_v_add_lshl_u32 v73, v3, v4, 0x0                   // scaleToBpe: accumulate d0 lower and *= bpe into Cin addr
v_cndmask_b32 v73, -1, v73, s[58:59]               // LDD clip if OOB. offset
/* (d1,vc1,d0,vc0)=(1,0,0,0) */
_v_add_co_u32 v1, vcc, v1, 17                      // coord1.1: coord1Vgpr += d1*sg1*VW + vc1

/* Fix for UseInitialStridesCD, emitAddressSetupCode */
s_mul_i32 s54, s[sgprStrideC1J], 17                // scale stride
_v_add_u32 v2, v2, s54                             // ROWINC- Move cinRowPtr to next row
s_mul_i32 s54, s[sgprStrideD1J], 17                // scale stride
_v_add_u32 v3, v3, s54                             // Move coutRowPtr to next row
v_cmp_lt_u32 s[54:55], v0, s[sgprSizeI]            // coord0 < size0
v_cmp_lt_u32 s[58:59], v1, s[sgprSizeJ]            // coord1 < size1
s_and_b64 s[58:59], s[54:55], s[58:59]             // in0 && in1
_v_add_lshl_u32 v75, v3, v0, 0x0                   // scaleToBpe: accumulate d0 lower and *= bpe into Cin addr
v_cndmask_b32 v75, -1, v75, s[58:59]               // LDD clip if OOB. offset
/* (d1,vc1,d0,vc0)=(1,0,0,1) */
_v_add_co_u32 v4, vcc, v0, 1                       // coord0.1: coord0 += d0*sg0*VW + vc0
v_cmp_lt_u32 s[54:55], v4, s[sgprSizeI]            // coord0 < size0
v_cmp_lt_u32 s[58:59], v1, s[sgprSizeJ]            // coord1 < size1
s_and_b64 s[58:59], s[54:55], s[58:59]             // in0 && in1
_v_add_lshl_u32 v77, v3, v4, 0x0                   // scaleToBpe: accumulate d0 lower and *= bpe into Cin addr
v_cndmask_b32 v77, -1, v77, s[58:59]               // LDD clip if OOB. offset
/* (d1,vc1,d0,vc0)=(1,1,0,0) */
_v_add_co_u32 v1, vcc, v1, 1                       // coord1.1: coord1Vgpr += d1*sg1*VW + vc1

/* Fix for UseInitialStridesCD, emitAddressSetupCode */
_v_add_u32 v2, v2, s[sgprStrideC1J]                // ROWINC- Move cinRowPtr to next row
_v_add_u32 v3, v3, s[sgprStrideD1J]                // Move coutRowPtr to next row
v_cmp_lt_u32 s[54:55], v0, s[sgprSizeI]            // coord0 < size0
v_cmp_lt_u32 s[58:59], v1, s[sgprSizeJ]            // coord1 < size1
s_and_b64 s[58:59], s[54:55], s[58:59]             // in0 && in1
_v_add_lshl_u32 v79, v3, v0, 0x0                   // scaleToBpe: accumulate d0 lower and *= bpe into Cin addr
v_cndmask_b32 v79, -1, v79, s[58:59]               // LDD clip if OOB. offset
/* (d1,vc1,d0,vc0)=(1,1,0,1) */
_v_add_co_u32 v4, vcc, v0, 1                       // coord0.1: coord0 += d0*sg0*VW + vc0
v_cmp_lt_u32 s[54:55], v4, s[sgprSizeI]            // coord0 < size0
v_cmp_lt_u32 s[58:59], v1, s[sgprSizeJ]            // coord1 < size1
s_and_b64 s[58:59], s[54:55], s[58:59]             // in0 && in1
_v_add_lshl_u32 v81, v3, v4, 0x0                   // scaleToBpe: accumulate d0 lower and *= bpe into Cin addr
v_cndmask_b32 v81, -1, v81, s[58:59]               // LDD clip if OOB. offset
/* (d1,vc1,d0,vc0)=(1,2,0,0) */
_v_add_co_u32 v1, vcc, v1, 1                       // coord1.1: coord1Vgpr += d1*sg1*VW + vc1

/* Fix for UseInitialStridesCD, emitAddressSetupCode */
_v_add_u32 v2, v2, s[sgprStrideC1J]                // ROWINC- Move cinRowPtr to next row
_v_add_u32 v3, v3, s[sgprStrideD1J]                // Move coutRowPtr to next row
v_cmp_lt_u32 s[54:55], v0, s[sgprSizeI]            // coord0 < size0
v_cmp_lt_u32 s[58:59], v1, s[sgprSizeJ]            // coord1 < size1
s_and_b64 s[58:59], s[54:55], s[58:59]             // in0 && in1
_v_add_lshl_u32 v83, v3, v0, 0x0                   // scaleToBpe: accumulate d0 lower and *= bpe into Cin addr
v_cndmask_b32 v83, -1, v83, s[58:59]               // LDD clip if OOB. offset
/* (d1,vc1,d0,vc0)=(1,2,0,1) */
_v_add_co_u32 v4, vcc, v0, 1                       // coord0.1: coord0 += d0*sg0*VW + vc0
v_cmp_lt_u32 s[54:55], v4, s[sgprSizeI]            // coord0 < size0
v_cmp_lt_u32 s[58:59], v1, s[sgprSizeJ]            // coord1 < size1
s_and_b64 s[58:59], s[54:55], s[58:59]             // in0 && in1
_v_add_lshl_u32 v85, v3, v4, 0x0                   // scaleToBpe: accumulate d0 lower and *= bpe into Cin addr
v_cndmask_b32 v85, -1, v85, s[58:59]               // LDD clip if OOB. offset
/* (d1,vc1,d0,vc0)=(1,3,0,0) */
_v_add_co_u32 v1, vcc, v1, 1                       // coord1.1: coord1Vgpr += d1*sg1*VW + vc1

/* Fix for UseInitialStridesCD, emitAddressSetupCode */
_v_add_u32 v2, v2, s[sgprStrideC1J]                // ROWINC- Move cinRowPtr to next row
_v_add_u32 v3, v3, s[sgprStrideD1J]                // Move coutRowPtr to next row
v_cmp_lt_u32 s[54:55], v0, s[sgprSizeI]            // coord0 < size0
v_cmp_lt_u32 s[58:59], v1, s[sgprSizeJ]            // coord1 < size1
s_and_b64 s[58:59], s[54:55], s[58:59]             // in0 && in1
_v_add_lshl_u32 v87, v3, v0, 0x0                   // scaleToBpe: accumulate d0 lower and *= bpe into Cin addr
v_cndmask_b32 v87, -1, v87, s[58:59]               // LDD clip if OOB. offset
/* (d1,vc1,d0,vc0)=(1,3,0,1) */
_v_add_co_u32 v4, vcc, v0, 1                       // coord0.1: coord0 += d0*sg0*VW + vc0
v_cmp_lt_u32 s[54:55], v4, s[sgprSizeI]            // coord0 < size0
v_cmp_lt_u32 s[58:59], v1, s[sgprSizeJ]            // coord1 < size1
s_and_b64 s[58:59], s[54:55], s[58:59]             // in0 && in1
_v_add_lshl_u32 v89, v3, v4, 0x0                   // scaleToBpe: accumulate d0 lower and *= bpe into Cin addr
v_cndmask_b32 v89, -1, v89, s[58:59]               // LDD clip if OOB. offset
/* (d1,vc1,d0,vc0)=(1,4,0,0) */
_v_add_co_u32 v1, vcc, v1, 1                       // coord1.1: coord1Vgpr += d1*sg1*VW + vc1

/* Fix for UseInitialStridesCD, emitAddressSetupCode */
_v_add_u32 v2, v2, s[sgprStrideC1J]                // ROWINC- Move cinRowPtr to next row
_v_add_u32 v3, v3, s[sgprStrideD1J]                // Move coutRowPtr to next row
v_cmp_lt_u32 s[54:55], v0, s[sgprSizeI]            // coord0 < size0
v_cmp_lt_u32 s[58:59], v1, s[sgprSizeJ]            // coord1 < size1
s_and_b64 s[58:59], s[54:55], s[58:59]             // in0 && in1
_v_add_lshl_u32 v91, v3, v0, 0x0                   // scaleToBpe: accumulate d0 lower and *= bpe into Cin addr
v_cndmask_b32 v91, -1, v91, s[58:59]               // LDD clip if OOB. offset
/* (d1,vc1,d0,vc0)=(1,4,0,1) */
_v_add_co_u32 v4, vcc, v0, 1                       // coord0.1: coord0 += d0*sg0*VW + vc0
v_cmp_lt_u32 s[54:55], v4, s[sgprSizeI]            // coord0 < size0
v_cmp_lt_u32 s[58:59], v1, s[sgprSizeJ]            // coord1 < size1
s_and_b64 s[58:59], s[54:55], s[58:59]             // in0 && in1
_v_add_lshl_u32 v93, v3, v4, 0x0                   // scaleToBpe: accumulate d0 lower and *= bpe into Cin addr
v_cndmask_b32 v93, -1, v93, s[58:59]               // LDD clip if OOB. offset
/* (d1,vc1,d0,vc0)=(1,5,0,0) */
_v_add_co_u32 v1, vcc, v1, 1                       // coord1.1: coord1Vgpr += d1*sg1*VW + vc1

/* Fix for UseInitialStridesCD, emitAddressSetupCode */
_v_add_u32 v2, v2, s[sgprStrideC1J]                // ROWINC- Move cinRowPtr to next row
_v_add_u32 v3, v3, s[sgprStrideD1J]                // Move coutRowPtr to next row
v_cmp_lt_u32 s[54:55], v0, s[sgprSizeI]            // coord0 < size0
v_cmp_lt_u32 s[58:59], v1, s[sgprSizeJ]            // coord1 < size1
s_and_b64 s[58:59], s[54:55], s[58:59]             // in0 && in1
_v_add_lshl_u32 v95, v3, v0, 0x0                   // scaleToBpe: accumulate d0 lower and *= bpe into Cin addr
v_cndmask_b32 v95, -1, v95, s[58:59]               // LDD clip if OOB. offset
/* (d1,vc1,d0,vc0)=(1,5,0,1) */
_v_add_co_u32 v4, vcc, v0, 1                       // coord0.1: coord0 += d0*sg0*VW + vc0
v_cmp_lt_u32 s[54:55], v4, s[sgprSizeI]            // coord0 < size0
v_cmp_lt_u32 s[58:59], v1, s[sgprSizeJ]            // coord1 < size1
s_and_b64 s[58:59], s[54:55], s[58:59]             // in0 && in1
_v_add_lshl_u32 v97, v3, v4, 0x0                   // scaleToBpe: accumulate d0 lower and *= bpe into Cin addr
v_cndmask_b32 v97, -1, v97, s[58:59]               // LDD clip if OOB. offset
/* (d1,vc1,d0,vc0)=(1,6,0,0) */
_v_add_co_u32 v1, vcc, v1, 1                       // coord1.1: coord1Vgpr += d1*sg1*VW + vc1

/* Fix for UseInitialStridesCD, emitAddressSetupCode */
_v_add_u32 v2, v2, s[sgprStrideC1J]                // ROWINC- Move cinRowPtr to next row
_v_add_u32 v3, v3, s[sgprStrideD1J]                // Move coutRowPtr to next row
v_cmp_lt_u32 s[54:55], v0, s[sgprSizeI]            // coord0 < size0
v_cmp_lt_u32 s[58:59], v1, s[sgprSizeJ]            // coord1 < size1
s_and_b64 s[58:59], s[54:55], s[58:59]             // in0 && in1
_v_add_lshl_u32 v99, v3, v0, 0x0                   // scaleToBpe: accumulate d0 lower and *= bpe into Cin addr
v_cndmask_b32 v99, -1, v99, s[58:59]               // LDD clip if OOB. offset
/* (d1,vc1,d0,vc0)=(1,6,0,1) */
_v_add_co_u32 v4, vcc, v0, 1                       // coord0.1: coord0 += d0*sg0*VW + vc0
v_cmp_lt_u32 s[54:55], v4, s[sgprSizeI]            // coord0 < size0
v_cmp_lt_u32 s[58:59], v1, s[sgprSizeJ]            // coord1 < size1
s_and_b64 s[58:59], s[54:55], s[58:59]             // in0 && in1
_v_add_lshl_u32 v101, v3, v4, 0x0                  // scaleToBpe: accumulate d0 lower and *= bpe into Cin addr
v_cndmask_b32 v101, -1, v101, s[58:59]             // LDD clip if OOB. offset
/* (d1,vc1,d0,vc0)=(1,7,0,0) */
_v_add_co_u32 v1, vcc, v1, 1                       // coord1.1: coord1Vgpr += d1*sg1*VW + vc1

/* Fix for UseInitialStridesCD, emitAddressSetupCode */
_v_add_u32 v2, v2, s[sgprStrideC1J]                // ROWINC- Move cinRowPtr to next row
_v_add_u32 v3, v3, s[sgprStrideD1J]                // Move coutRowPtr to next row
v_cmp_lt_u32 s[54:55], v0, s[sgprSizeI]            // coord0 < size0
v_cmp_lt_u32 s[58:59], v1, s[sgprSizeJ]            // coord1 < size1
s_and_b64 s[58:59], s[54:55], s[58:59]             // in0 && in1
_v_add_lshl_u32 v103, v3, v0, 0x0                  // scaleToBpe: accumulate d0 lower and *= bpe into Cin addr
v_cndmask_b32 v103, -1, v103, s[58:59]             // LDD clip if OOB. offset
/* (d1,vc1,d0,vc0)=(1,7,0,1) */
_v_add_co_u32 v4, vcc, v0, 1                       // coord0.1: coord0 += d0*sg0*VW + vc0
v_cmp_lt_u32 s[54:55], v4, s[sgprSizeI]            // coord0 < size0
v_cmp_lt_u32 s[58:59], v1, s[sgprSizeJ]            // coord1 < size1
s_and_b64 s[58:59], s[54:55], s[58:59]             // in0 && in1
_v_add_lshl_u32 v105, v3, v4, 0x0                  // scaleToBpe: accumulate d0 lower and *= bpe into Cin addr
v_cndmask_b32 v105, -1, v105, s[58:59]             // LDD clip if OOB. offset
/* (d1,vc1,d0,vc0)=(1,8,0,0) */
_v_add_co_u32 v1, vcc, v1, 1                       // coord1.1: coord1Vgpr += d1*sg1*VW + vc1

/* Fix for UseInitialStridesCD, emitAddressSetupCode */
_v_add_u32 v2, v2, s[sgprStrideC1J]                // ROWINC- Move cinRowPtr to next row
_v_add_u32 v3, v3, s[sgprStrideD1J]                // Move coutRowPtr to next row
v_cmp_lt_u32 s[54:55], v0, s[sgprSizeI]            // coord0 < size0
v_cmp_lt_u32 s[58:59], v1, s[sgprSizeJ]            // coord1 < size1
s_and_b64 s[58:59], s[54:55], s[58:59]             // in0 && in1
_v_add_lshl_u32 v107, v3, v0, 0x0                  // scaleToBpe: accumulate d0 lower and *= bpe into Cin addr
v_cndmask_b32 v107, -1, v107, s[58:59]             // LDD clip if OOB. offset
	;; [unrolled: 18-line block ×9, first 2 shown]
/* (d1,vc1,d0,vc0)=(1,15,0,1) */
_v_add_co_u32 v4, vcc, v0, 1                       // coord0.1: coord0 += d0*sg0*VW + vc0
v_cmp_lt_u32 s[54:55], v4, s[sgprSizeI]            // coord0 < size0
v_cmp_lt_u32 s[58:59], v1, s[sgprSizeJ]            // coord1 < size1
s_and_b64 s[58:59], s[54:55], s[58:59]             // in0 && in1
_v_add_lshl_u32 v140, v3, v4, 0x0                  // scaleToBpe: accumulate d0 lower and *= bpe into Cin addr
v_cndmask_b32 v140, -1, v140, s[58:59]             // LDD clip if OOB. offset
/* (d1,vc1,d0,vc0)=(2,0,0,0) */
_v_add_co_u32 v1, vcc, v1, 17                      // coord1.1: coord1Vgpr += d1*sg1*VW + vc1

/* Fix for UseInitialStridesCD, emitAddressSetupCode */
s_mul_i32 s54, s[sgprStrideC1J], 17                // scale stride
_v_add_u32 v2, v2, s54                             // ROWINC- Move cinRowPtr to next row
s_mul_i32 s54, s[sgprStrideD1J], 17                // scale stride
_v_add_u32 v3, v3, s54                             // Move coutRowPtr to next row
v_cmp_lt_u32 s[54:55], v0, s[sgprSizeI]            // coord0 < size0
v_cmp_lt_u32 s[58:59], v1, s[sgprSizeJ]            // coord1 < size1
s_and_b64 s[58:59], s[54:55], s[58:59]             // in0 && in1
_v_add_lshl_u32 v142, v3, v0, 0x0                  // scaleToBpe: accumulate d0 lower and *= bpe into Cin addr
v_cndmask_b32 v142, -1, v142, s[58:59]             // LDD clip if OOB. offset
/* (d1,vc1,d0,vc0)=(2,0,0,1) */
_v_add_co_u32 v4, vcc, v0, 1                       // coord0.1: coord0 += d0*sg0*VW + vc0
v_cmp_lt_u32 s[54:55], v4, s[sgprSizeI]            // coord0 < size0
v_cmp_lt_u32 s[58:59], v1, s[sgprSizeJ]            // coord1 < size1
s_and_b64 s[58:59], s[54:55], s[58:59]             // in0 && in1
_v_add_lshl_u32 v144, v3, v4, 0x0                  // scaleToBpe: accumulate d0 lower and *= bpe into Cin addr
v_cndmask_b32 v144, -1, v144, s[58:59]             // LDD clip if OOB. offset
/* (d1,vc1,d0,vc0)=(2,1,0,0) */
_v_add_co_u32 v1, vcc, v1, 1                       // coord1.1: coord1Vgpr += d1*sg1*VW + vc1

/* Fix for UseInitialStridesCD, emitAddressSetupCode */
_v_add_u32 v2, v2, s[sgprStrideC1J]                // ROWINC- Move cinRowPtr to next row
_v_add_u32 v3, v3, s[sgprStrideD1J]                // Move coutRowPtr to next row
v_cmp_lt_u32 s[54:55], v0, s[sgprSizeI]            // coord0 < size0
v_cmp_lt_u32 s[58:59], v1, s[sgprSizeJ]            // coord1 < size1
s_and_b64 s[58:59], s[54:55], s[58:59]             // in0 && in1
_v_add_lshl_u32 v146, v3, v0, 0x0                  // scaleToBpe: accumulate d0 lower and *= bpe into Cin addr
v_cndmask_b32 v146, -1, v146, s[58:59]             // LDD clip if OOB. offset
/* (d1,vc1,d0,vc0)=(2,1,0,1) */
_v_add_co_u32 v4, vcc, v0, 1                       // coord0.1: coord0 += d0*sg0*VW + vc0
v_cmp_lt_u32 s[54:55], v4, s[sgprSizeI]            // coord0 < size0
v_cmp_lt_u32 s[58:59], v1, s[sgprSizeJ]            // coord1 < size1
s_and_b64 s[58:59], s[54:55], s[58:59]             // in0 && in1
_v_add_lshl_u32 v148, v3, v4, 0x0                  // scaleToBpe: accumulate d0 lower and *= bpe into Cin addr
v_cndmask_b32 v148, -1, v148, s[58:59]             // LDD clip if OOB. offset
/* (d1,vc1,d0,vc0)=(2,2,0,0) */
_v_add_co_u32 v1, vcc, v1, 1                       // coord1.1: coord1Vgpr += d1*sg1*VW + vc1

/* Fix for UseInitialStridesCD, emitAddressSetupCode */
_v_add_u32 v2, v2, s[sgprStrideC1J]                // ROWINC- Move cinRowPtr to next row
_v_add_u32 v3, v3, s[sgprStrideD1J]                // Move coutRowPtr to next row
	;; [unrolled: 18-line block ×15, first 2 shown]
v_cmp_lt_u32 s[54:55], v0, s[sgprSizeI]            // coord0 < size0
v_cmp_lt_u32 s[58:59], v1, s[sgprSizeJ]            // coord1 < size1
s_and_b64 s[58:59], s[54:55], s[58:59]             // in0 && in1
_v_add_lshl_u32 v202, v3, v0, 0x0                  // scaleToBpe: accumulate d0 lower and *= bpe into Cin addr
v_cndmask_b32 v202, -1, v202, s[58:59]             // LDD clip if OOB. offset
/* (d1,vc1,d0,vc0)=(2,15,0,1) */
_v_add_co_u32 v4, vcc, v0, 1                       // coord0.1: coord0 += d0*sg0*VW + vc0
v_cmp_lt_u32 s[54:55], v4, s[sgprSizeI]            // coord0 < size0
v_cmp_lt_u32 s[58:59], v1, s[sgprSizeJ]            // coord1 < size1
s_and_b64 s[58:59], s[54:55], s[58:59]             // in0 && in1
_v_add_lshl_u32 v204, v3, v4, 0x0                  // scaleToBpe: accumulate d0 lower and *= bpe into Cin addr
v_cndmask_b32 v204, -1, v204, s[58:59]             // LDD clip if OOB. offset
/* (d1,vc1,d0,vc0)=(3,0,0,0) */
_v_add_co_u32 v1, vcc, v1, 17                      // coord1.1: coord1Vgpr += d1*sg1*VW + vc1

/* Fix for UseInitialStridesCD, emitAddressSetupCode */
s_mul_i32 s54, s[sgprStrideC1J], 17                // scale stride
_v_add_u32 v2, v2, s54                             // ROWINC- Move cinRowPtr to next row
s_mul_i32 s54, s[sgprStrideD1J], 17                // scale stride
_v_add_u32 v3, v3, s54                             // Move coutRowPtr to next row
v_cmp_lt_u32 s[54:55], v0, s[sgprSizeI]            // coord0 < size0
v_cmp_lt_u32 s[58:59], v1, s[sgprSizeJ]            // coord1 < size1
s_and_b64 s[58:59], s[54:55], s[58:59]             // in0 && in1
_v_add_lshl_u32 v206, v3, v0, 0x0                  // scaleToBpe: accumulate d0 lower and *= bpe into Cin addr
v_cndmask_b32 v206, -1, v206, s[58:59]             // LDD clip if OOB. offset
/* (d1,vc1,d0,vc0)=(3,0,0,1) */
_v_add_co_u32 v4, vcc, v0, 1                       // coord0.1: coord0 += d0*sg0*VW + vc0
v_cmp_lt_u32 s[54:55], v4, s[sgprSizeI]            // coord0 < size0
v_cmp_lt_u32 s[58:59], v1, s[sgprSizeJ]            // coord1 < size1
s_and_b64 s[58:59], s[54:55], s[58:59]             // in0 && in1
_v_add_lshl_u32 v208, v3, v4, 0x0                  // scaleToBpe: accumulate d0 lower and *= bpe into Cin addr
v_cndmask_b32 v208, -1, v208, s[58:59]             // LDD clip if OOB. offset
/* (d1,vc1,d0,vc0)=(3,1,0,0) */
_v_add_co_u32 v1, vcc, v1, 1                       // coord1.1: coord1Vgpr += d1*sg1*VW + vc1

/* Fix for UseInitialStridesCD, emitAddressSetupCode */
_v_add_u32 v2, v2, s[sgprStrideC1J]                // ROWINC- Move cinRowPtr to next row
_v_add_u32 v3, v3, s[sgprStrideD1J]                // Move coutRowPtr to next row
v_cmp_lt_u32 s[54:55], v0, s[sgprSizeI]            // coord0 < size0
v_cmp_lt_u32 s[58:59], v1, s[sgprSizeJ]            // coord1 < size1
s_and_b64 s[58:59], s[54:55], s[58:59]             // in0 && in1
_v_add_lshl_u32 v210, v3, v0, 0x0                  // scaleToBpe: accumulate d0 lower and *= bpe into Cin addr
v_cndmask_b32 v210, -1, v210, s[58:59]             // LDD clip if OOB. offset
/* (d1,vc1,d0,vc0)=(3,1,0,1) */
_v_add_co_u32 v4, vcc, v0, 1                       // coord0.1: coord0 += d0*sg0*VW + vc0
v_cmp_lt_u32 s[54:55], v4, s[sgprSizeI]            // coord0 < size0
v_cmp_lt_u32 s[58:59], v1, s[sgprSizeJ]            // coord1 < size1
s_and_b64 s[58:59], s[54:55], s[58:59]             // in0 && in1
_v_add_lshl_u32 v212, v3, v4, 0x0                  // scaleToBpe: accumulate d0 lower and *= bpe into Cin addr
v_cndmask_b32 v212, -1, v212, s[58:59]             // LDD clip if OOB. offset
/* (d1,vc1,d0,vc0)=(3,2,0,0) */
_v_add_co_u32 v1, vcc, v1, 1                       // coord1.1: coord1Vgpr += d1*sg1*VW + vc1

/* Fix for UseInitialStridesCD, emitAddressSetupCode */
_v_add_u32 v2, v2, s[sgprStrideC1J]                // ROWINC- Move cinRowPtr to next row
_v_add_u32 v3, v3, s[sgprStrideD1J]                // Move coutRowPtr to next row
v_cmp_lt_u32 s[54:55], v0, s[sgprSizeI]            // coord0 < size0
v_cmp_lt_u32 s[58:59], v1, s[sgprSizeJ]            // coord1 < size1
s_and_b64 s[58:59], s[54:55], s[58:59]             // in0 && in1
_v_add_lshl_u32 v214, v3, v0, 0x0                  // scaleToBpe: accumulate d0 lower and *= bpe into Cin addr
v_cndmask_b32 v214, -1, v214, s[58:59]             // LDD clip if OOB. offset
/* (d1,vc1,d0,vc0)=(3,2,0,1) */
_v_add_co_u32 v4, vcc, v0, 1                       // coord0.1: coord0 += d0*sg0*VW + vc0
v_cmp_lt_u32 s[54:55], v4, s[sgprSizeI]            // coord0 < size0
v_cmp_lt_u32 s[58:59], v1, s[sgprSizeJ]            // coord1 < size1
s_and_b64 s[58:59], s[54:55], s[58:59]             // in0 && in1
_v_add_lshl_u32 v216, v3, v4, 0x0                  // scaleToBpe: accumulate d0 lower and *= bpe into Cin addr
v_cndmask_b32 v216, -1, v216, s[58:59]             // LDD clip if OOB. offset
/* (d1,vc1,d0,vc0)=(3,3,0,0) */
_v_add_co_u32 v1, vcc, v1, 1                       // coord1.1: coord1Vgpr += d1*sg1*VW + vc1

/* Fix for UseInitialStridesCD, emitAddressSetupCode */
_v_add_u32 v2, v2, s[sgprStrideC1J]                // ROWINC- Move cinRowPtr to next row
_v_add_u32 v3, v3, s[sgprStrideD1J]                // Move coutRowPtr to next row
v_cmp_lt_u32 s[54:55], v0, s[sgprSizeI]            // coord0 < size0
v_cmp_lt_u32 s[58:59], v1, s[sgprSizeJ]            // coord1 < size1
s_and_b64 s[58:59], s[54:55], s[58:59]             // in0 && in1
_v_add_lshl_u32 v218, v3, v0, 0x0                  // scaleToBpe: accumulate d0 lower and *= bpe into Cin addr
v_cndmask_b32 v218, -1, v218, s[58:59]             // LDD clip if OOB. offset
/* (d1,vc1,d0,vc0)=(3,3,0,1) */
_v_add_co_u32 v4, vcc, v0, 1                       // coord0.1: coord0 += d0*sg0*VW + vc0
v_cmp_lt_u32 s[54:55], v4, s[sgprSizeI]            // coord0 < size0
v_cmp_lt_u32 s[58:59], v1, s[sgprSizeJ]            // coord1 < size1
s_and_b64 s[58:59], s[54:55], s[58:59]             // in0 && in1
_v_add_lshl_u32 v220, v3, v4, 0x0                  // scaleToBpe: accumulate d0 lower and *= bpe into Cin addr
v_cndmask_b32 v220, -1, v220, s[58:59]             // LDD clip if OOB. offset
/* (d1,vc1,d0,vc0)=(3,4,0,0) */
_v_add_co_u32 v1, vcc, v1, 1                       // coord1.1: coord1Vgpr += d1*sg1*VW + vc1

/* Fix for UseInitialStridesCD, emitAddressSetupCode */
_v_add_u32 v2, v2, s[sgprStrideC1J]                // ROWINC- Move cinRowPtr to next row
_v_add_u32 v3, v3, s[sgprStrideD1J]                // Move coutRowPtr to next row
v_cmp_lt_u32 s[54:55], v0, s[sgprSizeI]            // coord0 < size0
v_cmp_lt_u32 s[58:59], v1, s[sgprSizeJ]            // coord1 < size1
s_and_b64 s[58:59], s[54:55], s[58:59]             // in0 && in1
_v_add_lshl_u32 v222, v3, v0, 0x0                  // scaleToBpe: accumulate d0 lower and *= bpe into Cin addr
v_cndmask_b32 v222, -1, v222, s[58:59]             // LDD clip if OOB. offset
/* (d1,vc1,d0,vc0)=(3,4,0,1) */
_v_add_co_u32 v4, vcc, v0, 1                       // coord0.1: coord0 += d0*sg0*VW + vc0
v_cmp_lt_u32 s[54:55], v4, s[sgprSizeI]            // coord0 < size0
v_cmp_lt_u32 s[58:59], v1, s[sgprSizeJ]            // coord1 < size1
s_and_b64 s[58:59], s[54:55], s[58:59]             // in0 && in1
_v_add_lshl_u32 v224, v3, v4, 0x0                  // scaleToBpe: accumulate d0 lower and *= bpe into Cin addr
v_cndmask_b32 v224, -1, v224, s[58:59]             // LDD clip if OOB. offset
/* (d1,vc1,d0,vc0)=(3,5,0,0) */
_v_add_co_u32 v1, vcc, v1, 1                       // coord1.1: coord1Vgpr += d1*sg1*VW + vc1

/* Fix for UseInitialStridesCD, emitAddressSetupCode */
_v_add_u32 v2, v2, s[sgprStrideC1J]                // ROWINC- Move cinRowPtr to next row
_v_add_u32 v3, v3, s[sgprStrideD1J]                // Move coutRowPtr to next row
v_cmp_lt_u32 s[54:55], v0, s[sgprSizeI]            // coord0 < size0
v_cmp_lt_u32 s[58:59], v1, s[sgprSizeJ]            // coord1 < size1
s_and_b64 s[58:59], s[54:55], s[58:59]             // in0 && in1
_v_add_lshl_u32 v226, v3, v0, 0x0                  // scaleToBpe: accumulate d0 lower and *= bpe into Cin addr
v_cndmask_b32 v226, -1, v226, s[58:59]             // LDD clip if OOB. offset
/* (d1,vc1,d0,vc0)=(3,5,0,1) */
_v_add_co_u32 v4, vcc, v0, 1                       // coord0.1: coord0 += d0*sg0*VW + vc0
v_cmp_lt_u32 s[54:55], v4, s[sgprSizeI]            // coord0 < size0
v_cmp_lt_u32 s[58:59], v1, s[sgprSizeJ]            // coord1 < size1
s_and_b64 s[58:59], s[54:55], s[58:59]             // in0 && in1
_v_add_lshl_u32 v228, v3, v4, 0x0                  // scaleToBpe: accumulate d0 lower and *= bpe into Cin addr
v_cndmask_b32 v228, -1, v228, s[58:59]             // LDD clip if OOB. offset
/* (d1,vc1,d0,vc0)=(3,6,0,0) */
_v_add_co_u32 v1, vcc, v1, 1                       // coord1.1: coord1Vgpr += d1*sg1*VW + vc1

/* Fix for UseInitialStridesCD, emitAddressSetupCode */
_v_add_u32 v2, v2, s[sgprStrideC1J]                // ROWINC- Move cinRowPtr to next row
_v_add_u32 v3, v3, s[sgprStrideD1J]                // Move coutRowPtr to next row
v_cmp_lt_u32 s[54:55], v0, s[sgprSizeI]            // coord0 < size0
v_cmp_lt_u32 s[58:59], v1, s[sgprSizeJ]            // coord1 < size1
s_and_b64 s[58:59], s[54:55], s[58:59]             // in0 && in1
_v_add_lshl_u32 v230, v3, v0, 0x0                  // scaleToBpe: accumulate d0 lower and *= bpe into Cin addr
v_cndmask_b32 v230, -1, v230, s[58:59]             // LDD clip if OOB. offset
/* (d1,vc1,d0,vc0)=(3,6,0,1) */
_v_add_co_u32 v4, vcc, v0, 1                       // coord0.1: coord0 += d0*sg0*VW + vc0
v_cmp_lt_u32 s[54:55], v4, s[sgprSizeI]            // coord0 < size0
v_cmp_lt_u32 s[58:59], v1, s[sgprSizeJ]            // coord1 < size1
s_and_b64 s[58:59], s[54:55], s[58:59]             // in0 && in1
_v_add_lshl_u32 v232, v3, v4, 0x0                  // scaleToBpe: accumulate d0 lower and *= bpe into Cin addr
v_cndmask_b32 v232, -1, v232, s[58:59]             // LDD clip if OOB. offset
/* (d1,vc1,d0,vc0)=(3,7,0,0) */
_v_add_co_u32 v1, vcc, v1, 1                       // coord1.1: coord1Vgpr += d1*sg1*VW + vc1

/* Fix for UseInitialStridesCD, emitAddressSetupCode */
_v_add_u32 v2, v2, s[sgprStrideC1J]                // ROWINC- Move cinRowPtr to next row
_v_add_u32 v3, v3, s[sgprStrideD1J]                // Move coutRowPtr to next row
v_cmp_lt_u32 s[54:55], v0, s[sgprSizeI]            // coord0 < size0
v_cmp_lt_u32 s[58:59], v1, s[sgprSizeJ]            // coord1 < size1
s_and_b64 s[58:59], s[54:55], s[58:59]             // in0 && in1
_v_add_lshl_u32 v234, v3, v0, 0x0                  // scaleToBpe: accumulate d0 lower and *= bpe into Cin addr
v_cndmask_b32 v234, -1, v234, s[58:59]             // LDD clip if OOB. offset
/* (d1,vc1,d0,vc0)=(3,7,0,1) */
_v_add_co_u32 v4, vcc, v0, 1                       // coord0.1: coord0 += d0*sg0*VW + vc0
v_cmp_lt_u32 s[54:55], v4, s[sgprSizeI]            // coord0 < size0
v_cmp_lt_u32 s[58:59], v1, s[sgprSizeJ]            // coord1 < size1
s_and_b64 s[58:59], s[54:55], s[58:59]             // in0 && in1
_v_add_lshl_u32 v236, v3, v4, 0x0                  // scaleToBpe: accumulate d0 lower and *= bpe into Cin addr
v_cndmask_b32 v236, -1, v236, s[58:59]             // LDD clip if OOB. offset
/* (d1,vc1,d0,vc0)=(3,8,0,0) */
_v_add_co_u32 v1, vcc, v1, 1                       // coord1.1: coord1Vgpr += d1*sg1*VW + vc1

/* Fix for UseInitialStridesCD, emitAddressSetupCode */
_v_add_u32 v2, v2, s[sgprStrideC1J]                // ROWINC- Move cinRowPtr to next row
_v_add_u32 v3, v3, s[sgprStrideD1J]                // Move coutRowPtr to next row
v_cmp_lt_u32 s[54:55], v0, s[sgprSizeI]            // coord0 < size0
v_cmp_lt_u32 s[58:59], v1, s[sgprSizeJ]            // coord1 < size1
s_and_b64 s[58:59], s[54:55], s[58:59]             // in0 && in1
_v_add_lshl_u32 v238, v3, v0, 0x0                  // scaleToBpe: accumulate d0 lower and *= bpe into Cin addr
v_cndmask_b32 v238, -1, v238, s[58:59]             // LDD clip if OOB. offset
/* (d1,vc1,d0,vc0)=(3,8,0,1) */
_v_add_co_u32 v4, vcc, v0, 1                       // coord0.1: coord0 += d0*sg0*VW + vc0
v_cmp_lt_u32 s[54:55], v4, s[sgprSizeI]            // coord0 < size0
v_cmp_lt_u32 s[58:59], v1, s[sgprSizeJ]            // coord1 < size1
s_and_b64 s[58:59], s[54:55], s[58:59]             // in0 && in1
_v_add_lshl_u32 v240, v3, v4, 0x0                  // scaleToBpe: accumulate d0 lower and *= bpe into Cin addr
v_cndmask_b32 v240, -1, v240, s[58:59]             // LDD clip if OOB. offset
/* (d1,vc1,d0,vc0)=(3,9,0,0) */
_v_add_co_u32 v1, vcc, v1, 1                       // coord1.1: coord1Vgpr += d1*sg1*VW + vc1

/* Fix for UseInitialStridesCD, emitAddressSetupCode */
_v_add_u32 v2, v2, s[sgprStrideC1J]                // ROWINC- Move cinRowPtr to next row
_v_add_u32 v3, v3, s[sgprStrideD1J]                // Move coutRowPtr to next row
v_cmp_lt_u32 s[54:55], v0, s[sgprSizeI]            // coord0 < size0
v_cmp_lt_u32 s[58:59], v1, s[sgprSizeJ]            // coord1 < size1
s_and_b64 s[58:59], s[54:55], s[58:59]             // in0 && in1
_v_add_lshl_u32 v242, v3, v0, 0x0                  // scaleToBpe: accumulate d0 lower and *= bpe into Cin addr
v_cndmask_b32 v242, -1, v242, s[58:59]             // LDD clip if OOB. offset
/* (d1,vc1,d0,vc0)=(3,9,0,1) */
_v_add_co_u32 v4, vcc, v0, 1                       // coord0.1: coord0 += d0*sg0*VW + vc0
v_cmp_lt_u32 s[54:55], v4, s[sgprSizeI]            // coord0 < size0
v_cmp_lt_u32 s[58:59], v1, s[sgprSizeJ]            // coord1 < size1
s_and_b64 s[58:59], s[54:55], s[58:59]             // in0 && in1
_v_add_lshl_u32 v244, v3, v4, 0x0                  // scaleToBpe: accumulate d0 lower and *= bpe into Cin addr
v_cndmask_b32 v244, -1, v244, s[58:59]             // LDD clip if OOB. offset
/* (d1,vc1,d0,vc0)=(3,10,0,0) */
_v_add_co_u32 v1, vcc, v1, 1                       // coord1.1: coord1Vgpr += d1*sg1*VW + vc1

/* Fix for UseInitialStridesCD, emitAddressSetupCode */
_v_add_u32 v2, v2, s[sgprStrideC1J]                // ROWINC- Move cinRowPtr to next row
_v_add_u32 v3, v3, s[sgprStrideD1J]                // Move coutRowPtr to next row
v_cmp_lt_u32 s[54:55], v0, s[sgprSizeI]            // coord0 < size0
v_cmp_lt_u32 s[58:59], v1, s[sgprSizeJ]            // coord1 < size1
s_and_b64 s[58:59], s[54:55], s[58:59]             // in0 && in1
_v_add_lshl_u32 v246, v3, v0, 0x0                  // scaleToBpe: accumulate d0 lower and *= bpe into Cin addr
v_cndmask_b32 v246, -1, v246, s[58:59]             // LDD clip if OOB. offset
/* (d1,vc1,d0,vc0)=(3,10,0,1) */
_v_add_co_u32 v4, vcc, v0, 1                       // coord0.1: coord0 += d0*sg0*VW + vc0
v_cmp_lt_u32 s[54:55], v4, s[sgprSizeI]            // coord0 < size0
v_cmp_lt_u32 s[58:59], v1, s[sgprSizeJ]            // coord1 < size1
s_and_b64 s[58:59], s[54:55], s[58:59]             // in0 && in1
_v_add_lshl_u32 v248, v3, v4, 0x0                  // scaleToBpe: accumulate d0 lower and *= bpe into Cin addr
v_cndmask_b32 v248, -1, v248, s[58:59]             // LDD clip if OOB. offset
/* (d1,vc1,d0,vc0)=(3,11,0,0) */
_v_add_co_u32 v1, vcc, v1, 1                       // coord1.1: coord1Vgpr += d1*sg1*VW + vc1

/* Fix for UseInitialStridesCD, emitAddressSetupCode */
_v_add_u32 v2, v2, s[sgprStrideC1J]                // ROWINC- Move cinRowPtr to next row
_v_add_u32 v3, v3, s[sgprStrideD1J]                // Move coutRowPtr to next row
v_cmp_lt_u32 s[54:55], v0, s[sgprSizeI]            // coord0 < size0
v_cmp_lt_u32 s[58:59], v1, s[sgprSizeJ]            // coord1 < size1
s_and_b64 s[58:59], s[54:55], s[58:59]             // in0 && in1
_v_add_lshl_u32 v250, v3, v0, 0x0                  // scaleToBpe: accumulate d0 lower and *= bpe into Cin addr
v_cndmask_b32 v250, -1, v250, s[58:59]             // LDD clip if OOB. offset
/* (d1,vc1,d0,vc0)=(3,11,0,1) */
_v_add_co_u32 v4, vcc, v0, 1                       // coord0.1: coord0 += d0*sg0*VW + vc0
v_cmp_lt_u32 s[54:55], v4, s[sgprSizeI]            // coord0 < size0
v_cmp_lt_u32 s[58:59], v1, s[sgprSizeJ]            // coord1 < size1
s_and_b64 s[58:59], s[54:55], s[58:59]             // in0 && in1
_v_add_lshl_u32 v252, v3, v4, 0x0                  // scaleToBpe: accumulate d0 lower and *= bpe into Cin addr
v_cndmask_b32 v252, -1, v252, s[58:59]             // LDD clip if OOB. offset
v_accvgpr_read_b32 v[vgprValuC+12], acc0 // copy acc to vreg[0]
v_accvgpr_read_b32 v[vgprValuC+14], acc16 // copy acc to vreg[1]
v_accvgpr_read_b32 v[vgprValuC+16], acc32 // copy acc to vreg[2]
v_accvgpr_read_b32 v[vgprValuC+18], acc48 // copy acc to vreg[3]
v_accvgpr_read_b32 v[vgprValuC+20], acc64 // copy acc to vreg[4]
v_accvgpr_read_b32 v[vgprValuC+22], acc80 // copy acc to vreg[5]
v_accvgpr_read_b32 v[vgprValuC+24], acc96 // copy acc to vreg[6]
v_accvgpr_read_b32 v[vgprValuC+26], acc112 // copy acc to vreg[7]
v_accvgpr_read_b32 v[vgprValuC+28], acc1 // copy acc to vreg[8]
v_accvgpr_read_b32 v[vgprValuC+30], acc17 // copy acc to vreg[9]
v_accvgpr_read_b32 v[vgprValuC+32], acc33 // copy acc to vreg[10]
v_accvgpr_read_b32 v[vgprValuC+34], acc49 // copy acc to vreg[11]
v_accvgpr_read_b32 v[vgprValuC+36], acc65 // copy acc to vreg[12]
v_accvgpr_read_b32 v[vgprValuC+38], acc81 // copy acc to vreg[13]
v_accvgpr_read_b32 v[vgprValuC+40], acc97 // copy acc to vreg[14]
v_accvgpr_read_b32 v[vgprValuC+42], acc113 // copy acc to vreg[15]
v_accvgpr_read_b32 v[vgprValuC+44], acc2 // copy acc to vreg[16]
v_accvgpr_read_b32 v[vgprValuC+46], acc18 // copy acc to vreg[17]
v_accvgpr_read_b32 v[vgprValuC+48], acc34 // copy acc to vreg[18]
v_accvgpr_read_b32 v[vgprValuC+50], acc50 // copy acc to vreg[19]
v_accvgpr_read_b32 v[vgprValuC+52], acc66 // copy acc to vreg[20]
v_accvgpr_read_b32 v[vgprValuC+54], acc82 // copy acc to vreg[21]
v_accvgpr_read_b32 v[vgprValuC+56], acc98 // copy acc to vreg[22]
v_accvgpr_read_b32 v[vgprValuC+58], acc114 // copy acc to vreg[23]
v_accvgpr_read_b32 v[vgprValuC+60], acc3 // copy acc to vreg[24]
v_accvgpr_read_b32 v[vgprValuC+62], acc19 // copy acc to vreg[25]
v_accvgpr_read_b32 v[vgprValuC+64], acc35 // copy acc to vreg[26]
v_accvgpr_read_b32 v[vgprValuC+66], acc51 // copy acc to vreg[27]
v_accvgpr_read_b32 v[vgprValuC+68], acc67 // copy acc to vreg[28]
v_accvgpr_read_b32 v[vgprValuC+70], acc83 // copy acc to vreg[29]
v_accvgpr_read_b32 v[vgprValuC+72], acc99 // copy acc to vreg[30]
v_accvgpr_read_b32 v[vgprValuC+74], acc115 // copy acc to vreg[31]
v_accvgpr_read_b32 v[vgprValuC+76], acc4 // copy acc to vreg[32]
v_accvgpr_read_b32 v[vgprValuC+78], acc20 // copy acc to vreg[33]
v_accvgpr_read_b32 v[vgprValuC+80], acc36 // copy acc to vreg[34]
v_accvgpr_read_b32 v[vgprValuC+82], acc52 // copy acc to vreg[35]
v_accvgpr_read_b32 v[vgprValuC+84], acc68 // copy acc to vreg[36]
v_accvgpr_read_b32 v[vgprValuC+86], acc84 // copy acc to vreg[37]
v_accvgpr_read_b32 v[vgprValuC+88], acc100 // copy acc to vreg[38]
v_accvgpr_read_b32 v[vgprValuC+90], acc116 // copy acc to vreg[39]
v_accvgpr_read_b32 v[vgprValuC+92], acc5 // copy acc to vreg[40]
v_accvgpr_read_b32 v[vgprValuC+94], acc21 // copy acc to vreg[41]
v_accvgpr_read_b32 v[vgprValuC+96], acc37 // copy acc to vreg[42]
v_accvgpr_read_b32 v[vgprValuC+98], acc53 // copy acc to vreg[43]
v_accvgpr_read_b32 v[vgprValuC+100], acc69 // copy acc to vreg[44]
v_accvgpr_read_b32 v[vgprValuC+102], acc85 // copy acc to vreg[45]
v_accvgpr_read_b32 v[vgprValuC+104], acc101 // copy acc to vreg[46]
v_accvgpr_read_b32 v[vgprValuC+106], acc117 // copy acc to vreg[47]
v_accvgpr_read_b32 v[vgprValuC+108], acc6 // copy acc to vreg[48]
v_accvgpr_read_b32 v[vgprValuC+110], acc22 // copy acc to vreg[49]
v_accvgpr_read_b32 v[vgprValuC+112], acc38 // copy acc to vreg[50]
v_accvgpr_read_b32 v[vgprValuC+114], acc54 // copy acc to vreg[51]
v_accvgpr_read_b32 v[vgprValuC+119], acc70 // copy acc to vreg[52]
v_accvgpr_read_b32 v[vgprValuC+121], acc86 // copy acc to vreg[53]
v_accvgpr_read_b32 v[vgprValuC+123], acc102 // copy acc to vreg[54]
v_accvgpr_read_b32 v[vgprValuC+125], acc118 // copy acc to vreg[55]
v_accvgpr_read_b32 v[vgprValuC+127], acc7 // copy acc to vreg[56]
v_accvgpr_read_b32 v[vgprValuC+129], acc23 // copy acc to vreg[57]
v_accvgpr_read_b32 v[vgprValuC+131], acc39 // copy acc to vreg[58]
v_accvgpr_read_b32 v[vgprValuC+133], acc55 // copy acc to vreg[59]
v_accvgpr_read_b32 v[vgprValuC+135], acc71 // copy acc to vreg[60]
v_accvgpr_read_b32 v[vgprValuC+137], acc87 // copy acc to vreg[61]
v_accvgpr_read_b32 v[vgprValuC+139], acc103 // copy acc to vreg[62]
v_accvgpr_read_b32 v[vgprValuC+141], acc119 // copy acc to vreg[63]
v_accvgpr_read_b32 v[vgprValuC+143], acc8 // copy acc to vreg[64]
v_accvgpr_read_b32 v[vgprValuC+145], acc24 // copy acc to vreg[65]
v_accvgpr_read_b32 v[vgprValuC+147], acc40 // copy acc to vreg[66]
v_accvgpr_read_b32 v[vgprValuC+149], acc56 // copy acc to vreg[67]
v_accvgpr_read_b32 v[vgprValuC+151], acc72 // copy acc to vreg[68]
v_accvgpr_read_b32 v[vgprValuC+153], acc88 // copy acc to vreg[69]
v_accvgpr_read_b32 v[vgprValuC+155], acc104 // copy acc to vreg[70]
v_accvgpr_read_b32 v[vgprValuC+157], acc120 // copy acc to vreg[71]
v_accvgpr_read_b32 v[vgprValuC+159], acc9 // copy acc to vreg[72]
v_accvgpr_read_b32 v[vgprValuC+161], acc25 // copy acc to vreg[73]
v_accvgpr_read_b32 v[vgprValuC+163], acc41 // copy acc to vreg[74]
v_accvgpr_read_b32 v[vgprValuC+165], acc57 // copy acc to vreg[75]
v_accvgpr_read_b32 v[vgprValuC+167], acc73 // copy acc to vreg[76]
v_accvgpr_read_b32 v[vgprValuC+169], acc89 // copy acc to vreg[77]
v_accvgpr_read_b32 v[vgprValuC+171], acc105 // copy acc to vreg[78]
v_accvgpr_read_b32 v[vgprValuC+173], acc121 // copy acc to vreg[79]
v_accvgpr_read_b32 v[vgprValuC+175], acc10 // copy acc to vreg[80]
v_accvgpr_read_b32 v[vgprValuC+177], acc26 // copy acc to vreg[81]
v_accvgpr_read_b32 v[vgprValuC+179], acc42 // copy acc to vreg[82]
v_accvgpr_read_b32 v[vgprValuC+181], acc58 // copy acc to vreg[83]
v_accvgpr_read_b32 v[vgprValuC+183], acc74 // copy acc to vreg[84]
v_accvgpr_read_b32 v[vgprValuC+185], acc90 // copy acc to vreg[85]
v_accvgpr_read_b32 v[vgprValuC+187], acc106 // copy acc to vreg[86]
v_accvgpr_read_b32 v[vgprValuC+189], acc122 // copy acc to vreg[87]
v_accvgpr_read_b32 v[vgprValuC+191], acc11 // copy acc to vreg[88]
v_accvgpr_read_b32 v[vgprValuC+193], acc27 // copy acc to vreg[89]
v_accvgpr_read_b32 v[vgprValuC+195], acc43 // copy acc to vreg[90]
v_accvgpr_read_b32 v[vgprValuC+197], acc59 // copy acc to vreg[91]
v_accvgpr_read_b32 v[vgprValuC+199], acc75 // copy acc to vreg[92]
v_accvgpr_read_b32 v[vgprValuC+201], acc91 // copy acc to vreg[93]
v_accvgpr_read_b32 v[vgprValuC+203], acc107 // copy acc to vreg[94]
v_accvgpr_read_b32 v[vgprValuC+205], acc123 // copy acc to vreg[95]
v_accvgpr_read_b32 v[vgprValuC+207], acc12 // copy acc to vreg[96]
v_accvgpr_read_b32 v[vgprValuC+209], acc28 // copy acc to vreg[97]
v_accvgpr_read_b32 v[vgprValuC+211], acc44 // copy acc to vreg[98]
v_accvgpr_read_b32 v[vgprValuC+213], acc60 // copy acc to vreg[99]
v_accvgpr_read_b32 v[vgprValuC+215], acc76 // copy acc to vreg[100]
v_accvgpr_read_b32 v[vgprValuC+217], acc92 // copy acc to vreg[101]
v_accvgpr_read_b32 v[vgprValuC+219], acc108 // copy acc to vreg[102]
v_accvgpr_read_b32 v[vgprValuC+221], acc124 // copy acc to vreg[103]
v_accvgpr_read_b32 v[vgprValuC+223], acc13 // copy acc to vreg[104]
v_accvgpr_read_b32 v[vgprValuC+225], acc29 // copy acc to vreg[105]
v_accvgpr_read_b32 v[vgprValuC+227], acc45 // copy acc to vreg[106]
v_accvgpr_read_b32 v[vgprValuC+229], acc61 // copy acc to vreg[107]
v_accvgpr_read_b32 v[vgprValuC+231], acc77 // copy acc to vreg[108]
v_accvgpr_read_b32 v[vgprValuC+233], acc93 // copy acc to vreg[109]
v_accvgpr_read_b32 v[vgprValuC+235], acc109 // copy acc to vreg[110]
v_accvgpr_read_b32 v[vgprValuC+237], acc125 // copy acc to vreg[111]
v_accvgpr_read_b32 v[vgprValuC+239], acc14 // copy acc to vreg[112]
v_accvgpr_read_b32 v[vgprValuC+241], acc30 // copy acc to vreg[113]
v_accvgpr_read_b32 v[vgprValuC+243], acc46 // copy acc to vreg[114]
v_accvgpr_read_b32 v[vgprValuC+245], acc62 // copy acc to vreg[115]
v_accvgpr_read_b32 v[vgprValuC+247], acc78 // copy acc to vreg[116]
v_accvgpr_read_b32 v[vgprValuC+249], acc94 // copy acc to vreg[117]
v_accvgpr_read_b32 v[vgprValuC+251], acc110 // copy acc to vreg[118]
v_accvgpr_read_b32 v[vgprValuC+253], acc126 // copy acc to vreg[119]
s_nop 1                                            // 2 wait states required before reading vgpr

/* rC *= alpha batchElements=[(0, 0, 0, 0), (0, 0, 0, 1), (0, 0, 1, 0), (0, 0, 1, 1), (0, 0, 2, 0), (0, 0, 2, 1), (0, 0, 3, 0), (0, 0, 3, 1), (0, 0, 4, 0), (0, 0, 4, 1), (0, 0, 5, 0), (0, 0, 5, 1), (0, 0, 6, 0), (0, 0, 6, 1), (0, 0, 7, 0), (0, 0, 7, 1), (0, 0, 8, 0), (0, 0, 8, 1), (0, 0, 9, 0), (0, 0, 9, 1), (0, 0, 10, 0), (0, 0, 10, 1), (0, 0, 11, 0), (0, 0, 11, 1), (0, 0, 12, 0), (0, 0, 12, 1), (0, 0, 13, 0), (0, 0, 13, 1), (0, 0, 14, 0), (0, 0, 14, 1), (0, 0, 15, 0), (0, 0, 15, 1), (1, 0, 0, 0), (1, 0, 0, 1), (1, 0, 1, 0), (1, 0, 1, 1), (1, 0, 2, 0), (1, 0, 2, 1), (1, 0, 3, 0), (1, 0, 3, 1), (1, 0, 4, 0), (1, 0, 4, 1), (1, 0, 5, 0), (1, 0, 5, 1), (1, 0, 6, 0), (1, 0, 6, 1), (1, 0, 7, 0), (1, 0, 7, 1), (1, 0, 8, 0), (1, 0, 8, 1), (1, 0, 9, 0), (1, 0, 9, 1), (1, 0, 10, 0), (1, 0, 10, 1), (1, 0, 11, 0), (1, 0, 11, 1), (1, 0, 12, 0), (1, 0, 12, 1), (1, 0, 13, 0), (1, 0, 13, 1), (1, 0, 14, 0), (1, 0, 14, 1), (1, 0, 15, 0), (1, 0, 15, 1), (2, 0, 0, 0), (2, 0, 0, 1), (2, 0, 1, 0), (2, 0, 1, 1), (2, 0, 2, 0), (2, 0, 2, 1), (2, 0, 3, 0), (2, 0, 3, 1), (2, 0, 4, 0), (2, 0, 4, 1), (2, 0, 5, 0), (2, 0, 5, 1), (2, 0, 6, 0), (2, 0, 6, 1), (2, 0, 7, 0), (2, 0, 7, 1), (2, 0, 8, 0), (2, 0, 8, 1), (2, 0, 9, 0), (2, 0, 9, 1), (2, 0, 10, 0), (2, 0, 10, 1), (2, 0, 11, 0), (2, 0, 11, 1), (2, 0, 12, 0), (2, 0, 12, 1), (2, 0, 13, 0), (2, 0, 13, 1), (2, 0, 14, 0), (2, 0, 14, 1), (2, 0, 15, 0), (2, 0, 15, 1), (3, 0, 0, 0), (3, 0, 0, 1), (3, 0, 1, 0), (3, 0, 1, 1), (3, 0, 2, 0), (3, 0, 2, 1), (3, 0, 3, 0), (3, 0, 3, 1), (3, 0, 4, 0), (3, 0, 4, 1), (3, 0, 5, 0), (3, 0, 5, 1), (3, 0, 6, 0), (3, 0, 6, 1), (3, 0, 7, 0), (3, 0, 7, 1), (3, 0, 8, 0), (3, 0, 8, 1), (3, 0, 9, 0), (3, 0, 9, 1), (3, 0, 10, 0), (3, 0, 10, 1), (3, 0, 11, 0), (3, 0, 11, 1)] */
v_mul_f32 v[vgprValuC+12], s[sgprAlpha], v[vgprValuC+12] // *= alpha
v_mul_f32 v[vgprValuC+14], s[sgprAlpha], v[vgprValuC+14] // *= alpha
	;; [unrolled: 1-line block ×120, first 2 shown]

/* apply mask, calc new C and issue writes */
v_mov_b32 v10, 0x207                               // flag for Nan and +/- inf
v_mov_b32 v8, 0x43700000                           // save 240.0f as max for clipping
v_mov_b32 v9, 0xC3700000                           // save -240.0f as min for clipping
v_cmp_class_f32 s[54:55], v[vgprValuC+12], v10     // check NaN and +/-INF
v_med3_f32 v6, v[vgprValuC+12], v8, v9             // Clipping f32 value if exceeds the limit
v_cndmask_b32 v6, v6, v[vgprValuC+12], s[54:55]    // 
v_cvt_pk_fp8_f32  v12, v6, v6                      // convert f32 accumulated values to fp8
buffer_store_byte v12, v11, s[sgprSrdD:sgprSrdD+3], 0, offen, offset:0 // store D
v_cmp_class_f32 s[54:55], v[vgprValuC+14], v10     // check NaN and +/-INF
v_med3_f32 v6, v[vgprValuC+14], v8, v9             // Clipping f32 value if exceeds the limit
v_cndmask_b32 v6, v6, v[vgprValuC+14], s[54:55]    // 
v_cvt_pk_fp8_f32  v14, v6, v6                      // convert f32 accumulated values to fp8
buffer_store_byte v14, v13, s[sgprSrdD:sgprSrdD+3], 0, offen, offset:0 // store D
	;; [unrolled: 5-line block ×44, first 2 shown]
v_cmp_class_f32 s[54:55], v[vgprValuC+100], v10    // check NaN and +/-INF
v_med3_f32 v6, v[vgprValuC+100], v8, v9            // Clipping f32 value if exceeds the limit
v_cndmask_b32 v6, v6, v[vgprValuC+100], s[54:55]   // 
v_cvt_pk_fp8_f32  v100, v6, v6                     // convert f32 accumulated values to fp8
buffer_store_byte v100, v99, s[sgprSrdD:sgprSrdD+3], 0, offen, offset:0 // store D
v_cmp_class_f32 s[54:55], v[vgprValuC+102], v10    // check NaN and +/-INF
v_med3_f32 v6, v[vgprValuC+102], v8, v9            // Clipping f32 value if exceeds the limit
v_cndmask_b32 v6, v6, v[vgprValuC+102], s[54:55]   // 
v_cvt_pk_fp8_f32  v102, v6, v6                     // convert f32 accumulated values to fp8
buffer_store_byte v102, v101, s[sgprSrdD:sgprSrdD+3], 0, offen, offset:0 // store D
	;; [unrolled: 5-line block ×76, first 2 shown]
s_nop 0                                            // 1 wait state required when next inst writes vgprs held by previous dwordx4 store inst
/* optSingleColVgpr=0 optSharedColVgpr=0 optSGPRUsage=BufferLoad_Edge_Mask optSrdIncForRow=0 */

/******************************************/
/* Global Write Alpha Edge Batch #1 (d1,d0,vc1,vc0) = */
/*    (3,0,12,0:vw1); (3,0,12,1:vw1); (3,0,13,0:vw1); (3,0,13,1:vw1); (3,0,14,0:vw1); (3,0,14,1:vw1); (3,0,15,0:vw1); (3,0,15,1:vw1); (4,0,0,0:vw1); (4,0,0,1:vw1); (4,0,1,0:vw1); (4,0,1,1:vw1); (4,0,2,0:vw1); (4,0,2,1:vw1); (4,0,3,0:vw1); (4,0,3,1:vw1); (4,0,4,0:vw1); (4,0,4,1:vw1); (4,0,5,0:vw1); (4,0,5,1:vw1); (4,0,6,0:vw1); (4,0,6,1:vw1); (4,0,7,0:vw1); (4,0,7,1:vw1); (4,0,8,0:vw1); (4,0,8,1:vw1); (4,0,9,0:vw1); (4,0,9,1:vw1); (4,0,10,0:vw1); (4,0,10,1:vw1); (4,0,11,0:vw1); (4,0,11,1:vw1); (4,0,12,0:vw1); (4,0,12,1:vw1); (4,0,13,0:vw1); (4,0,13,1:vw1); (4,0,14,0:vw1); (4,0,14,1:vw1); (4,0,15,0:vw1); (4,0,15,1:vw1); (5,0,0,0:vw1); (5,0,0,1:vw1); (5,0,1,0:vw1); (5,0,1,1:vw1); (5,0,2,0:vw1); (5,0,2,1:vw1); (5,0,3,0:vw1); (5,0,3,1:vw1); (5,0,4,0:vw1); (5,0,4,1:vw1); (5,0,5,0:vw1); (5,0,5,1:vw1); (5,0,6,0:vw1); (5,0,6,1:vw1); (5,0,7,0:vw1); (5,0,7,1:vw1); (5,0,8,0:vw1); (5,0,8,1:vw1); (5,0,9,0:vw1); (5,0,9,1:vw1); (5,0,10,0:vw1); (5,0,10,1:vw1); (5,0,11,0:vw1); (5,0,11,1:vw1); (5,0,12,0:vw1); (5,0,12,1:vw1); (5,0,13,0:vw1); (5,0,13,1:vw1); (5,0,14,0:vw1); (5,0,14,1:vw1); (5,0,15,0:vw1); (5,0,15,1:vw1); (6,0,0,0:vw1); (6,0,0,1:vw1); (6,0,1,0:vw1); (6,0,1,1:vw1); (6,0,2,0:vw1); (6,0,2,1:vw1); (6,0,3,0:vw1); (6,0,3,1:vw1); (6,0,4,0:vw1); (6,0,4,1:vw1); (6,0,5,0:vw1); (6,0,5,1:vw1); (6,0,6,0:vw1); (6,0,6,1:vw1); (6,0,7,0:vw1); (6,0,7,1:vw1); (6,0,8,0:vw1); (6,0,8,1:vw1); (6,0,9,0:vw1); (6,0,9,1:vw1); (6,0,10,0:vw1); (6,0,10,1:vw1); (6,0,11,0:vw1); (6,0,11,1:vw1); (6,0,12,0:vw1); (6,0,12,1:vw1); (6,0,13,0:vw1); (6,0,13,1:vw1); (6,0,14,0:vw1); (6,0,14,1:vw1); (6,0,15,0:vw1); (6,0,15,1:vw1); (7,0,0,0:vw1); (7,0,0,1:vw1); (7,0,1,0:vw1); (7,0,1,1:vw1); (7,0,2,0:vw1); (7,0,2,1:vw1); (7,0,3,0:vw1); (7,0,3,1:vw1); (7,0,4,0:vw1); (7,0,4,1:vw1); (7,0,5,0:vw1); (7,0,5,1:vw1); (7,0,6,0:vw1); (7,0,6,1:vw1); (7,0,7,0:vw1); (7,0,7,1:vw1) */
/******************************************/

/* calc coords, apply mask, and issue loads (if necessary) */
/* (d1,vc1,d0,vc0)=(3,12,0,0) */
_v_add_co_u32 v1, vcc, v1, 1                       // coord1.1: coord1Vgpr += d1*sg1*VW + vc1

/* Fix for UseInitialStridesCD, emitAddressSetupCode */
_v_add_u32 v2, v2, s[sgprStrideC1J]                // ROWINC- Move cinRowPtr to next row
_v_add_u32 v3, v3, s[sgprStrideD1J]                // Move coutRowPtr to next row
v_cmp_lt_u32 s[54:55], v0, s[sgprSizeI]            // coord0 < size0
v_cmp_lt_u32 s[58:59], v1, s[sgprSizeJ]            // coord1 < size1
s_and_b64 s[58:59], s[54:55], s[58:59]             // in0 && in1
_v_add_lshl_u32 v11, v3, v0, 0x0                   // scaleToBpe: accumulate d0 lower and *= bpe into Cin addr
v_cndmask_b32 v11, -1, v11, s[58:59]               // LDD clip if OOB. offset
/* (d1,vc1,d0,vc0)=(3,12,0,1) */
_v_add_co_u32 v4, vcc, v0, 1                       // coord0.1: coord0 += d0*sg0*VW + vc0
v_cmp_lt_u32 s[54:55], v4, s[sgprSizeI]            // coord0 < size0
v_cmp_lt_u32 s[58:59], v1, s[sgprSizeJ]            // coord1 < size1
s_and_b64 s[58:59], s[54:55], s[58:59]             // in0 && in1
_v_add_lshl_u32 v13, v3, v4, 0x0                   // scaleToBpe: accumulate d0 lower and *= bpe into Cin addr
v_cndmask_b32 v13, -1, v13, s[58:59]               // LDD clip if OOB. offset
/* (d1,vc1,d0,vc0)=(3,13,0,0) */
_v_add_co_u32 v1, vcc, v1, 1                       // coord1.1: coord1Vgpr += d1*sg1*VW + vc1

/* Fix for UseInitialStridesCD, emitAddressSetupCode */
_v_add_u32 v2, v2, s[sgprStrideC1J]                // ROWINC- Move cinRowPtr to next row
_v_add_u32 v3, v3, s[sgprStrideD1J]                // Move coutRowPtr to next row
v_cmp_lt_u32 s[54:55], v0, s[sgprSizeI]            // coord0 < size0
v_cmp_lt_u32 s[58:59], v1, s[sgprSizeJ]            // coord1 < size1
s_and_b64 s[58:59], s[54:55], s[58:59]             // in0 && in1
_v_add_lshl_u32 v15, v3, v0, 0x0                   // scaleToBpe: accumulate d0 lower and *= bpe into Cin addr
v_cndmask_b32 v15, -1, v15, s[58:59]               // LDD clip if OOB. offset
/* (d1,vc1,d0,vc0)=(3,13,0,1) */
_v_add_co_u32 v4, vcc, v0, 1                       // coord0.1: coord0 += d0*sg0*VW + vc0
v_cmp_lt_u32 s[54:55], v4, s[sgprSizeI]            // coord0 < size0
v_cmp_lt_u32 s[58:59], v1, s[sgprSizeJ]            // coord1 < size1
s_and_b64 s[58:59], s[54:55], s[58:59]             // in0 && in1
_v_add_lshl_u32 v17, v3, v4, 0x0                   // scaleToBpe: accumulate d0 lower and *= bpe into Cin addr
v_cndmask_b32 v17, -1, v17, s[58:59]               // LDD clip if OOB. offset
	;; [unrolled: 18-line block ×4, first 2 shown]
/* (d1,vc1,d0,vc0)=(4,0,0,0) */
_v_add_co_u32 v1, vcc, v1, 17                      // coord1.1: coord1Vgpr += d1*sg1*VW + vc1

/* Fix for UseInitialStridesCD, emitAddressSetupCode */
s_mul_i32 s54, s[sgprStrideC1J], 17                // scale stride
_v_add_u32 v2, v2, s54                             // ROWINC- Move cinRowPtr to next row
s_mul_i32 s54, s[sgprStrideD1J], 17                // scale stride
_v_add_u32 v3, v3, s54                             // Move coutRowPtr to next row
v_cmp_lt_u32 s[54:55], v0, s[sgprSizeI]            // coord0 < size0
v_cmp_lt_u32 s[58:59], v1, s[sgprSizeJ]            // coord1 < size1
s_and_b64 s[58:59], s[54:55], s[58:59]             // in0 && in1
_v_add_lshl_u32 v27, v3, v0, 0x0                   // scaleToBpe: accumulate d0 lower and *= bpe into Cin addr
v_cndmask_b32 v27, -1, v27, s[58:59]               // LDD clip if OOB. offset
/* (d1,vc1,d0,vc0)=(4,0,0,1) */
_v_add_co_u32 v4, vcc, v0, 1                       // coord0.1: coord0 += d0*sg0*VW + vc0
v_cmp_lt_u32 s[54:55], v4, s[sgprSizeI]            // coord0 < size0
v_cmp_lt_u32 s[58:59], v1, s[sgprSizeJ]            // coord1 < size1
s_and_b64 s[58:59], s[54:55], s[58:59]             // in0 && in1
_v_add_lshl_u32 v29, v3, v4, 0x0                   // scaleToBpe: accumulate d0 lower and *= bpe into Cin addr
v_cndmask_b32 v29, -1, v29, s[58:59]               // LDD clip if OOB. offset
/* (d1,vc1,d0,vc0)=(4,1,0,0) */
_v_add_co_u32 v1, vcc, v1, 1                       // coord1.1: coord1Vgpr += d1*sg1*VW + vc1

/* Fix for UseInitialStridesCD, emitAddressSetupCode */
_v_add_u32 v2, v2, s[sgprStrideC1J]                // ROWINC- Move cinRowPtr to next row
_v_add_u32 v3, v3, s[sgprStrideD1J]                // Move coutRowPtr to next row
v_cmp_lt_u32 s[54:55], v0, s[sgprSizeI]            // coord0 < size0
v_cmp_lt_u32 s[58:59], v1, s[sgprSizeJ]            // coord1 < size1
s_and_b64 s[58:59], s[54:55], s[58:59]             // in0 && in1
_v_add_lshl_u32 v31, v3, v0, 0x0                   // scaleToBpe: accumulate d0 lower and *= bpe into Cin addr
v_cndmask_b32 v31, -1, v31, s[58:59]               // LDD clip if OOB. offset
/* (d1,vc1,d0,vc0)=(4,1,0,1) */
_v_add_co_u32 v4, vcc, v0, 1                       // coord0.1: coord0 += d0*sg0*VW + vc0
v_cmp_lt_u32 s[54:55], v4, s[sgprSizeI]            // coord0 < size0
v_cmp_lt_u32 s[58:59], v1, s[sgprSizeJ]            // coord1 < size1
s_and_b64 s[58:59], s[54:55], s[58:59]             // in0 && in1
_v_add_lshl_u32 v33, v3, v4, 0x0                   // scaleToBpe: accumulate d0 lower and *= bpe into Cin addr
v_cndmask_b32 v33, -1, v33, s[58:59]               // LDD clip if OOB. offset
/* (d1,vc1,d0,vc0)=(4,2,0,0) */
_v_add_co_u32 v1, vcc, v1, 1                       // coord1.1: coord1Vgpr += d1*sg1*VW + vc1

/* Fix for UseInitialStridesCD, emitAddressSetupCode */
_v_add_u32 v2, v2, s[sgprStrideC1J]                // ROWINC- Move cinRowPtr to next row
_v_add_u32 v3, v3, s[sgprStrideD1J]                // Move coutRowPtr to next row
v_cmp_lt_u32 s[54:55], v0, s[sgprSizeI]            // coord0 < size0
v_cmp_lt_u32 s[58:59], v1, s[sgprSizeJ]            // coord1 < size1
s_and_b64 s[58:59], s[54:55], s[58:59]             // in0 && in1
_v_add_lshl_u32 v35, v3, v0, 0x0                   // scaleToBpe: accumulate d0 lower and *= bpe into Cin addr
v_cndmask_b32 v35, -1, v35, s[58:59]               // LDD clip if OOB. offset
/* (d1,vc1,d0,vc0)=(4,2,0,1) */
_v_add_co_u32 v4, vcc, v0, 1                       // coord0.1: coord0 += d0*sg0*VW + vc0
v_cmp_lt_u32 s[54:55], v4, s[sgprSizeI]            // coord0 < size0
v_cmp_lt_u32 s[58:59], v1, s[sgprSizeJ]            // coord1 < size1
s_and_b64 s[58:59], s[54:55], s[58:59]             // in0 && in1
_v_add_lshl_u32 v37, v3, v4, 0x0                   // scaleToBpe: accumulate d0 lower and *= bpe into Cin addr
v_cndmask_b32 v37, -1, v37, s[58:59]               // LDD clip if OOB. offset
/* (d1,vc1,d0,vc0)=(4,3,0,0) */
_v_add_co_u32 v1, vcc, v1, 1                       // coord1.1: coord1Vgpr += d1*sg1*VW + vc1

/* Fix for UseInitialStridesCD, emitAddressSetupCode */
_v_add_u32 v2, v2, s[sgprStrideC1J]                // ROWINC- Move cinRowPtr to next row
_v_add_u32 v3, v3, s[sgprStrideD1J]                // Move coutRowPtr to next row
v_cmp_lt_u32 s[54:55], v0, s[sgprSizeI]            // coord0 < size0
v_cmp_lt_u32 s[58:59], v1, s[sgprSizeJ]            // coord1 < size1
s_and_b64 s[58:59], s[54:55], s[58:59]             // in0 && in1
_v_add_lshl_u32 v39, v3, v0, 0x0                   // scaleToBpe: accumulate d0 lower and *= bpe into Cin addr
v_cndmask_b32 v39, -1, v39, s[58:59]               // LDD clip if OOB. offset
/* (d1,vc1,d0,vc0)=(4,3,0,1) */
_v_add_co_u32 v4, vcc, v0, 1                       // coord0.1: coord0 += d0*sg0*VW + vc0
v_cmp_lt_u32 s[54:55], v4, s[sgprSizeI]            // coord0 < size0
v_cmp_lt_u32 s[58:59], v1, s[sgprSizeJ]            // coord1 < size1
s_and_b64 s[58:59], s[54:55], s[58:59]             // in0 && in1
_v_add_lshl_u32 v41, v3, v4, 0x0                   // scaleToBpe: accumulate d0 lower and *= bpe into Cin addr
v_cndmask_b32 v41, -1, v41, s[58:59]               // LDD clip if OOB. offset
/* (d1,vc1,d0,vc0)=(4,4,0,0) */
_v_add_co_u32 v1, vcc, v1, 1                       // coord1.1: coord1Vgpr += d1*sg1*VW + vc1

/* Fix for UseInitialStridesCD, emitAddressSetupCode */
_v_add_u32 v2, v2, s[sgprStrideC1J]                // ROWINC- Move cinRowPtr to next row
_v_add_u32 v3, v3, s[sgprStrideD1J]                // Move coutRowPtr to next row
v_cmp_lt_u32 s[54:55], v0, s[sgprSizeI]            // coord0 < size0
v_cmp_lt_u32 s[58:59], v1, s[sgprSizeJ]            // coord1 < size1
s_and_b64 s[58:59], s[54:55], s[58:59]             // in0 && in1
_v_add_lshl_u32 v43, v3, v0, 0x0                   // scaleToBpe: accumulate d0 lower and *= bpe into Cin addr
v_cndmask_b32 v43, -1, v43, s[58:59]               // LDD clip if OOB. offset
/* (d1,vc1,d0,vc0)=(4,4,0,1) */
_v_add_co_u32 v4, vcc, v0, 1                       // coord0.1: coord0 += d0*sg0*VW + vc0
v_cmp_lt_u32 s[54:55], v4, s[sgprSizeI]            // coord0 < size0
v_cmp_lt_u32 s[58:59], v1, s[sgprSizeJ]            // coord1 < size1
s_and_b64 s[58:59], s[54:55], s[58:59]             // in0 && in1
_v_add_lshl_u32 v45, v3, v4, 0x0                   // scaleToBpe: accumulate d0 lower and *= bpe into Cin addr
v_cndmask_b32 v45, -1, v45, s[58:59]               // LDD clip if OOB. offset
/* (d1,vc1,d0,vc0)=(4,5,0,0) */
_v_add_co_u32 v1, vcc, v1, 1                       // coord1.1: coord1Vgpr += d1*sg1*VW + vc1

/* Fix for UseInitialStridesCD, emitAddressSetupCode */
_v_add_u32 v2, v2, s[sgprStrideC1J]                // ROWINC- Move cinRowPtr to next row
_v_add_u32 v3, v3, s[sgprStrideD1J]                // Move coutRowPtr to next row
v_cmp_lt_u32 s[54:55], v0, s[sgprSizeI]            // coord0 < size0
v_cmp_lt_u32 s[58:59], v1, s[sgprSizeJ]            // coord1 < size1
s_and_b64 s[58:59], s[54:55], s[58:59]             // in0 && in1
_v_add_lshl_u32 v47, v3, v0, 0x0                   // scaleToBpe: accumulate d0 lower and *= bpe into Cin addr
v_cndmask_b32 v47, -1, v47, s[58:59]               // LDD clip if OOB. offset
/* (d1,vc1,d0,vc0)=(4,5,0,1) */
_v_add_co_u32 v4, vcc, v0, 1                       // coord0.1: coord0 += d0*sg0*VW + vc0
v_cmp_lt_u32 s[54:55], v4, s[sgprSizeI]            // coord0 < size0
v_cmp_lt_u32 s[58:59], v1, s[sgprSizeJ]            // coord1 < size1
s_and_b64 s[58:59], s[54:55], s[58:59]             // in0 && in1
_v_add_lshl_u32 v49, v3, v4, 0x0                   // scaleToBpe: accumulate d0 lower and *= bpe into Cin addr
v_cndmask_b32 v49, -1, v49, s[58:59]               // LDD clip if OOB. offset
/* (d1,vc1,d0,vc0)=(4,6,0,0) */
_v_add_co_u32 v1, vcc, v1, 1                       // coord1.1: coord1Vgpr += d1*sg1*VW + vc1

/* Fix for UseInitialStridesCD, emitAddressSetupCode */
_v_add_u32 v2, v2, s[sgprStrideC1J]                // ROWINC- Move cinRowPtr to next row
_v_add_u32 v3, v3, s[sgprStrideD1J]                // Move coutRowPtr to next row
v_cmp_lt_u32 s[54:55], v0, s[sgprSizeI]            // coord0 < size0
v_cmp_lt_u32 s[58:59], v1, s[sgprSizeJ]            // coord1 < size1
s_and_b64 s[58:59], s[54:55], s[58:59]             // in0 && in1
_v_add_lshl_u32 v51, v3, v0, 0x0                   // scaleToBpe: accumulate d0 lower and *= bpe into Cin addr
v_cndmask_b32 v51, -1, v51, s[58:59]               // LDD clip if OOB. offset
/* (d1,vc1,d0,vc0)=(4,6,0,1) */
_v_add_co_u32 v4, vcc, v0, 1                       // coord0.1: coord0 += d0*sg0*VW + vc0
v_cmp_lt_u32 s[54:55], v4, s[sgprSizeI]            // coord0 < size0
v_cmp_lt_u32 s[58:59], v1, s[sgprSizeJ]            // coord1 < size1
s_and_b64 s[58:59], s[54:55], s[58:59]             // in0 && in1
_v_add_lshl_u32 v53, v3, v4, 0x0                   // scaleToBpe: accumulate d0 lower and *= bpe into Cin addr
v_cndmask_b32 v53, -1, v53, s[58:59]               // LDD clip if OOB. offset
/* (d1,vc1,d0,vc0)=(4,7,0,0) */
_v_add_co_u32 v1, vcc, v1, 1                       // coord1.1: coord1Vgpr += d1*sg1*VW + vc1

/* Fix for UseInitialStridesCD, emitAddressSetupCode */
_v_add_u32 v2, v2, s[sgprStrideC1J]                // ROWINC- Move cinRowPtr to next row
_v_add_u32 v3, v3, s[sgprStrideD1J]                // Move coutRowPtr to next row
v_cmp_lt_u32 s[54:55], v0, s[sgprSizeI]            // coord0 < size0
v_cmp_lt_u32 s[58:59], v1, s[sgprSizeJ]            // coord1 < size1
s_and_b64 s[58:59], s[54:55], s[58:59]             // in0 && in1
_v_add_lshl_u32 v55, v3, v0, 0x0                   // scaleToBpe: accumulate d0 lower and *= bpe into Cin addr
v_cndmask_b32 v55, -1, v55, s[58:59]               // LDD clip if OOB. offset
/* (d1,vc1,d0,vc0)=(4,7,0,1) */
_v_add_co_u32 v4, vcc, v0, 1                       // coord0.1: coord0 += d0*sg0*VW + vc0
v_cmp_lt_u32 s[54:55], v4, s[sgprSizeI]            // coord0 < size0
v_cmp_lt_u32 s[58:59], v1, s[sgprSizeJ]            // coord1 < size1
s_and_b64 s[58:59], s[54:55], s[58:59]             // in0 && in1
_v_add_lshl_u32 v57, v3, v4, 0x0                   // scaleToBpe: accumulate d0 lower and *= bpe into Cin addr
v_cndmask_b32 v57, -1, v57, s[58:59]               // LDD clip if OOB. offset
/* (d1,vc1,d0,vc0)=(4,8,0,0) */
_v_add_co_u32 v1, vcc, v1, 1                       // coord1.1: coord1Vgpr += d1*sg1*VW + vc1

/* Fix for UseInitialStridesCD, emitAddressSetupCode */
_v_add_u32 v2, v2, s[sgprStrideC1J]                // ROWINC- Move cinRowPtr to next row
_v_add_u32 v3, v3, s[sgprStrideD1J]                // Move coutRowPtr to next row
v_cmp_lt_u32 s[54:55], v0, s[sgprSizeI]            // coord0 < size0
v_cmp_lt_u32 s[58:59], v1, s[sgprSizeJ]            // coord1 < size1
s_and_b64 s[58:59], s[54:55], s[58:59]             // in0 && in1
_v_add_lshl_u32 v59, v3, v0, 0x0                   // scaleToBpe: accumulate d0 lower and *= bpe into Cin addr
v_cndmask_b32 v59, -1, v59, s[58:59]               // LDD clip if OOB. offset
/* (d1,vc1,d0,vc0)=(4,8,0,1) */
_v_add_co_u32 v4, vcc, v0, 1                       // coord0.1: coord0 += d0*sg0*VW + vc0
v_cmp_lt_u32 s[54:55], v4, s[sgprSizeI]            // coord0 < size0
v_cmp_lt_u32 s[58:59], v1, s[sgprSizeJ]            // coord1 < size1
s_and_b64 s[58:59], s[54:55], s[58:59]             // in0 && in1
_v_add_lshl_u32 v61, v3, v4, 0x0                   // scaleToBpe: accumulate d0 lower and *= bpe into Cin addr
v_cndmask_b32 v61, -1, v61, s[58:59]               // LDD clip if OOB. offset
/* (d1,vc1,d0,vc0)=(4,9,0,0) */
_v_add_co_u32 v1, vcc, v1, 1                       // coord1.1: coord1Vgpr += d1*sg1*VW + vc1

/* Fix for UseInitialStridesCD, emitAddressSetupCode */
_v_add_u32 v2, v2, s[sgprStrideC1J]                // ROWINC- Move cinRowPtr to next row
_v_add_u32 v3, v3, s[sgprStrideD1J]                // Move coutRowPtr to next row
v_cmp_lt_u32 s[54:55], v0, s[sgprSizeI]            // coord0 < size0
v_cmp_lt_u32 s[58:59], v1, s[sgprSizeJ]            // coord1 < size1
s_and_b64 s[58:59], s[54:55], s[58:59]             // in0 && in1
_v_add_lshl_u32 v63, v3, v0, 0x0                   // scaleToBpe: accumulate d0 lower and *= bpe into Cin addr
v_cndmask_b32 v63, -1, v63, s[58:59]               // LDD clip if OOB. offset
/* (d1,vc1,d0,vc0)=(4,9,0,1) */
_v_add_co_u32 v4, vcc, v0, 1                       // coord0.1: coord0 += d0*sg0*VW + vc0
v_cmp_lt_u32 s[54:55], v4, s[sgprSizeI]            // coord0 < size0
v_cmp_lt_u32 s[58:59], v1, s[sgprSizeJ]            // coord1 < size1
s_and_b64 s[58:59], s[54:55], s[58:59]             // in0 && in1
_v_add_lshl_u32 v65, v3, v4, 0x0                   // scaleToBpe: accumulate d0 lower and *= bpe into Cin addr
v_cndmask_b32 v65, -1, v65, s[58:59]               // LDD clip if OOB. offset
/* (d1,vc1,d0,vc0)=(4,10,0,0) */
_v_add_co_u32 v1, vcc, v1, 1                       // coord1.1: coord1Vgpr += d1*sg1*VW + vc1

/* Fix for UseInitialStridesCD, emitAddressSetupCode */
_v_add_u32 v2, v2, s[sgprStrideC1J]                // ROWINC- Move cinRowPtr to next row
_v_add_u32 v3, v3, s[sgprStrideD1J]                // Move coutRowPtr to next row
v_cmp_lt_u32 s[54:55], v0, s[sgprSizeI]            // coord0 < size0
v_cmp_lt_u32 s[58:59], v1, s[sgprSizeJ]            // coord1 < size1
s_and_b64 s[58:59], s[54:55], s[58:59]             // in0 && in1
_v_add_lshl_u32 v67, v3, v0, 0x0                   // scaleToBpe: accumulate d0 lower and *= bpe into Cin addr
v_cndmask_b32 v67, -1, v67, s[58:59]               // LDD clip if OOB. offset
/* (d1,vc1,d0,vc0)=(4,10,0,1) */
_v_add_co_u32 v4, vcc, v0, 1                       // coord0.1: coord0 += d0*sg0*VW + vc0
v_cmp_lt_u32 s[54:55], v4, s[sgprSizeI]            // coord0 < size0
v_cmp_lt_u32 s[58:59], v1, s[sgprSizeJ]            // coord1 < size1
s_and_b64 s[58:59], s[54:55], s[58:59]             // in0 && in1
_v_add_lshl_u32 v69, v3, v4, 0x0                   // scaleToBpe: accumulate d0 lower and *= bpe into Cin addr
v_cndmask_b32 v69, -1, v69, s[58:59]               // LDD clip if OOB. offset
/* (d1,vc1,d0,vc0)=(4,11,0,0) */
_v_add_co_u32 v1, vcc, v1, 1                       // coord1.1: coord1Vgpr += d1*sg1*VW + vc1

/* Fix for UseInitialStridesCD, emitAddressSetupCode */
_v_add_u32 v2, v2, s[sgprStrideC1J]                // ROWINC- Move cinRowPtr to next row
_v_add_u32 v3, v3, s[sgprStrideD1J]                // Move coutRowPtr to next row
v_cmp_lt_u32 s[54:55], v0, s[sgprSizeI]            // coord0 < size0
v_cmp_lt_u32 s[58:59], v1, s[sgprSizeJ]            // coord1 < size1
s_and_b64 s[58:59], s[54:55], s[58:59]             // in0 && in1
_v_add_lshl_u32 v71, v3, v0, 0x0                   // scaleToBpe: accumulate d0 lower and *= bpe into Cin addr
v_cndmask_b32 v71, -1, v71, s[58:59]               // LDD clip if OOB. offset
/* (d1,vc1,d0,vc0)=(4,11,0,1) */
_v_add_co_u32 v4, vcc, v0, 1                       // coord0.1: coord0 += d0*sg0*VW + vc0
v_cmp_lt_u32 s[54:55], v4, s[sgprSizeI]            // coord0 < size0
v_cmp_lt_u32 s[58:59], v1, s[sgprSizeJ]            // coord1 < size1
s_and_b64 s[58:59], s[54:55], s[58:59]             // in0 && in1
_v_add_lshl_u32 v73, v3, v4, 0x0                   // scaleToBpe: accumulate d0 lower and *= bpe into Cin addr
v_cndmask_b32 v73, -1, v73, s[58:59]               // LDD clip if OOB. offset
/* (d1,vc1,d0,vc0)=(4,12,0,0) */
_v_add_co_u32 v1, vcc, v1, 1                       // coord1.1: coord1Vgpr += d1*sg1*VW + vc1

/* Fix for UseInitialStridesCD, emitAddressSetupCode */
_v_add_u32 v2, v2, s[sgprStrideC1J]                // ROWINC- Move cinRowPtr to next row
_v_add_u32 v3, v3, s[sgprStrideD1J]                // Move coutRowPtr to next row
v_cmp_lt_u32 s[54:55], v0, s[sgprSizeI]            // coord0 < size0
v_cmp_lt_u32 s[58:59], v1, s[sgprSizeJ]            // coord1 < size1
s_and_b64 s[58:59], s[54:55], s[58:59]             // in0 && in1
_v_add_lshl_u32 v75, v3, v0, 0x0                   // scaleToBpe: accumulate d0 lower and *= bpe into Cin addr
v_cndmask_b32 v75, -1, v75, s[58:59]               // LDD clip if OOB. offset
/* (d1,vc1,d0,vc0)=(4,12,0,1) */
_v_add_co_u32 v4, vcc, v0, 1                       // coord0.1: coord0 += d0*sg0*VW + vc0
v_cmp_lt_u32 s[54:55], v4, s[sgprSizeI]            // coord0 < size0
v_cmp_lt_u32 s[58:59], v1, s[sgprSizeJ]            // coord1 < size1
s_and_b64 s[58:59], s[54:55], s[58:59]             // in0 && in1
_v_add_lshl_u32 v77, v3, v4, 0x0                   // scaleToBpe: accumulate d0 lower and *= bpe into Cin addr
v_cndmask_b32 v77, -1, v77, s[58:59]               // LDD clip if OOB. offset
/* (d1,vc1,d0,vc0)=(4,13,0,0) */
_v_add_co_u32 v1, vcc, v1, 1                       // coord1.1: coord1Vgpr += d1*sg1*VW + vc1

/* Fix for UseInitialStridesCD, emitAddressSetupCode */
_v_add_u32 v2, v2, s[sgprStrideC1J]                // ROWINC- Move cinRowPtr to next row
_v_add_u32 v3, v3, s[sgprStrideD1J]                // Move coutRowPtr to next row
v_cmp_lt_u32 s[54:55], v0, s[sgprSizeI]            // coord0 < size0
v_cmp_lt_u32 s[58:59], v1, s[sgprSizeJ]            // coord1 < size1
s_and_b64 s[58:59], s[54:55], s[58:59]             // in0 && in1
_v_add_lshl_u32 v79, v3, v0, 0x0                   // scaleToBpe: accumulate d0 lower and *= bpe into Cin addr
v_cndmask_b32 v79, -1, v79, s[58:59]               // LDD clip if OOB. offset
/* (d1,vc1,d0,vc0)=(4,13,0,1) */
_v_add_co_u32 v4, vcc, v0, 1                       // coord0.1: coord0 += d0*sg0*VW + vc0
v_cmp_lt_u32 s[54:55], v4, s[sgprSizeI]            // coord0 < size0
v_cmp_lt_u32 s[58:59], v1, s[sgprSizeJ]            // coord1 < size1
s_and_b64 s[58:59], s[54:55], s[58:59]             // in0 && in1
_v_add_lshl_u32 v81, v3, v4, 0x0                   // scaleToBpe: accumulate d0 lower and *= bpe into Cin addr
v_cndmask_b32 v81, -1, v81, s[58:59]               // LDD clip if OOB. offset
/* (d1,vc1,d0,vc0)=(4,14,0,0) */
_v_add_co_u32 v1, vcc, v1, 1                       // coord1.1: coord1Vgpr += d1*sg1*VW + vc1

/* Fix for UseInitialStridesCD, emitAddressSetupCode */
_v_add_u32 v2, v2, s[sgprStrideC1J]                // ROWINC- Move cinRowPtr to next row
_v_add_u32 v3, v3, s[sgprStrideD1J]                // Move coutRowPtr to next row
v_cmp_lt_u32 s[54:55], v0, s[sgprSizeI]            // coord0 < size0
v_cmp_lt_u32 s[58:59], v1, s[sgprSizeJ]            // coord1 < size1
s_and_b64 s[58:59], s[54:55], s[58:59]             // in0 && in1
_v_add_lshl_u32 v83, v3, v0, 0x0                   // scaleToBpe: accumulate d0 lower and *= bpe into Cin addr
v_cndmask_b32 v83, -1, v83, s[58:59]               // LDD clip if OOB. offset
/* (d1,vc1,d0,vc0)=(4,14,0,1) */
_v_add_co_u32 v4, vcc, v0, 1                       // coord0.1: coord0 += d0*sg0*VW + vc0
v_cmp_lt_u32 s[54:55], v4, s[sgprSizeI]            // coord0 < size0
v_cmp_lt_u32 s[58:59], v1, s[sgprSizeJ]            // coord1 < size1
s_and_b64 s[58:59], s[54:55], s[58:59]             // in0 && in1
_v_add_lshl_u32 v85, v3, v4, 0x0                   // scaleToBpe: accumulate d0 lower and *= bpe into Cin addr
v_cndmask_b32 v85, -1, v85, s[58:59]               // LDD clip if OOB. offset
/* (d1,vc1,d0,vc0)=(4,15,0,0) */
_v_add_co_u32 v1, vcc, v1, 1                       // coord1.1: coord1Vgpr += d1*sg1*VW + vc1

/* Fix for UseInitialStridesCD, emitAddressSetupCode */
_v_add_u32 v2, v2, s[sgprStrideC1J]                // ROWINC- Move cinRowPtr to next row
_v_add_u32 v3, v3, s[sgprStrideD1J]                // Move coutRowPtr to next row
v_cmp_lt_u32 s[54:55], v0, s[sgprSizeI]            // coord0 < size0
v_cmp_lt_u32 s[58:59], v1, s[sgprSizeJ]            // coord1 < size1
s_and_b64 s[58:59], s[54:55], s[58:59]             // in0 && in1
_v_add_lshl_u32 v87, v3, v0, 0x0                   // scaleToBpe: accumulate d0 lower and *= bpe into Cin addr
v_cndmask_b32 v87, -1, v87, s[58:59]               // LDD clip if OOB. offset
/* (d1,vc1,d0,vc0)=(4,15,0,1) */
_v_add_co_u32 v4, vcc, v0, 1                       // coord0.1: coord0 += d0*sg0*VW + vc0
v_cmp_lt_u32 s[54:55], v4, s[sgprSizeI]            // coord0 < size0
v_cmp_lt_u32 s[58:59], v1, s[sgprSizeJ]            // coord1 < size1
s_and_b64 s[58:59], s[54:55], s[58:59]             // in0 && in1
_v_add_lshl_u32 v89, v3, v4, 0x0                   // scaleToBpe: accumulate d0 lower and *= bpe into Cin addr
v_cndmask_b32 v89, -1, v89, s[58:59]               // LDD clip if OOB. offset
/* (d1,vc1,d0,vc0)=(5,0,0,0) */
_v_add_co_u32 v1, vcc, v1, 17                      // coord1.1: coord1Vgpr += d1*sg1*VW + vc1

/* Fix for UseInitialStridesCD, emitAddressSetupCode */
s_mul_i32 s54, s[sgprStrideC1J], 17                // scale stride
_v_add_u32 v2, v2, s54                             // ROWINC- Move cinRowPtr to next row
s_mul_i32 s54, s[sgprStrideD1J], 17                // scale stride
_v_add_u32 v3, v3, s54                             // Move coutRowPtr to next row
v_cmp_lt_u32 s[54:55], v0, s[sgprSizeI]            // coord0 < size0
v_cmp_lt_u32 s[58:59], v1, s[sgprSizeJ]            // coord1 < size1
s_and_b64 s[58:59], s[54:55], s[58:59]             // in0 && in1
_v_add_lshl_u32 v91, v3, v0, 0x0                   // scaleToBpe: accumulate d0 lower and *= bpe into Cin addr
v_cndmask_b32 v91, -1, v91, s[58:59]               // LDD clip if OOB. offset
/* (d1,vc1,d0,vc0)=(5,0,0,1) */
_v_add_co_u32 v4, vcc, v0, 1                       // coord0.1: coord0 += d0*sg0*VW + vc0
v_cmp_lt_u32 s[54:55], v4, s[sgprSizeI]            // coord0 < size0
v_cmp_lt_u32 s[58:59], v1, s[sgprSizeJ]            // coord1 < size1
s_and_b64 s[58:59], s[54:55], s[58:59]             // in0 && in1
_v_add_lshl_u32 v93, v3, v4, 0x0                   // scaleToBpe: accumulate d0 lower and *= bpe into Cin addr
v_cndmask_b32 v93, -1, v93, s[58:59]               // LDD clip if OOB. offset
/* (d1,vc1,d0,vc0)=(5,1,0,0) */
_v_add_co_u32 v1, vcc, v1, 1                       // coord1.1: coord1Vgpr += d1*sg1*VW + vc1

/* Fix for UseInitialStridesCD, emitAddressSetupCode */
_v_add_u32 v2, v2, s[sgprStrideC1J]                // ROWINC- Move cinRowPtr to next row
_v_add_u32 v3, v3, s[sgprStrideD1J]                // Move coutRowPtr to next row
v_cmp_lt_u32 s[54:55], v0, s[sgprSizeI]            // coord0 < size0
v_cmp_lt_u32 s[58:59], v1, s[sgprSizeJ]            // coord1 < size1
s_and_b64 s[58:59], s[54:55], s[58:59]             // in0 && in1
_v_add_lshl_u32 v95, v3, v0, 0x0                   // scaleToBpe: accumulate d0 lower and *= bpe into Cin addr
v_cndmask_b32 v95, -1, v95, s[58:59]               // LDD clip if OOB. offset
/* (d1,vc1,d0,vc0)=(5,1,0,1) */
_v_add_co_u32 v4, vcc, v0, 1                       // coord0.1: coord0 += d0*sg0*VW + vc0
v_cmp_lt_u32 s[54:55], v4, s[sgprSizeI]            // coord0 < size0
v_cmp_lt_u32 s[58:59], v1, s[sgprSizeJ]            // coord1 < size1
s_and_b64 s[58:59], s[54:55], s[58:59]             // in0 && in1
_v_add_lshl_u32 v97, v3, v4, 0x0                   // scaleToBpe: accumulate d0 lower and *= bpe into Cin addr
v_cndmask_b32 v97, -1, v97, s[58:59]               // LDD clip if OOB. offset
/* (d1,vc1,d0,vc0)=(5,2,0,0) */
_v_add_co_u32 v1, vcc, v1, 1                       // coord1.1: coord1Vgpr += d1*sg1*VW + vc1

/* Fix for UseInitialStridesCD, emitAddressSetupCode */
_v_add_u32 v2, v2, s[sgprStrideC1J]                // ROWINC- Move cinRowPtr to next row
_v_add_u32 v3, v3, s[sgprStrideD1J]                // Move coutRowPtr to next row
v_cmp_lt_u32 s[54:55], v0, s[sgprSizeI]            // coord0 < size0
v_cmp_lt_u32 s[58:59], v1, s[sgprSizeJ]            // coord1 < size1
s_and_b64 s[58:59], s[54:55], s[58:59]             // in0 && in1
_v_add_lshl_u32 v99, v3, v0, 0x0                   // scaleToBpe: accumulate d0 lower and *= bpe into Cin addr
v_cndmask_b32 v99, -1, v99, s[58:59]               // LDD clip if OOB. offset
/* (d1,vc1,d0,vc0)=(5,2,0,1) */
_v_add_co_u32 v4, vcc, v0, 1                       // coord0.1: coord0 += d0*sg0*VW + vc0
v_cmp_lt_u32 s[54:55], v4, s[sgprSizeI]            // coord0 < size0
v_cmp_lt_u32 s[58:59], v1, s[sgprSizeJ]            // coord1 < size1
s_and_b64 s[58:59], s[54:55], s[58:59]             // in0 && in1
_v_add_lshl_u32 v101, v3, v4, 0x0                  // scaleToBpe: accumulate d0 lower and *= bpe into Cin addr
v_cndmask_b32 v101, -1, v101, s[58:59]             // LDD clip if OOB. offset
/* (d1,vc1,d0,vc0)=(5,3,0,0) */
_v_add_co_u32 v1, vcc, v1, 1                       // coord1.1: coord1Vgpr += d1*sg1*VW + vc1

/* Fix for UseInitialStridesCD, emitAddressSetupCode */
_v_add_u32 v2, v2, s[sgprStrideC1J]                // ROWINC- Move cinRowPtr to next row
_v_add_u32 v3, v3, s[sgprStrideD1J]                // Move coutRowPtr to next row
v_cmp_lt_u32 s[54:55], v0, s[sgprSizeI]            // coord0 < size0
v_cmp_lt_u32 s[58:59], v1, s[sgprSizeJ]            // coord1 < size1
s_and_b64 s[58:59], s[54:55], s[58:59]             // in0 && in1
_v_add_lshl_u32 v103, v3, v0, 0x0                  // scaleToBpe: accumulate d0 lower and *= bpe into Cin addr
v_cndmask_b32 v103, -1, v103, s[58:59]             // LDD clip if OOB. offset
/* (d1,vc1,d0,vc0)=(5,3,0,1) */
_v_add_co_u32 v4, vcc, v0, 1                       // coord0.1: coord0 += d0*sg0*VW + vc0
v_cmp_lt_u32 s[54:55], v4, s[sgprSizeI]            // coord0 < size0
v_cmp_lt_u32 s[58:59], v1, s[sgprSizeJ]            // coord1 < size1
s_and_b64 s[58:59], s[54:55], s[58:59]             // in0 && in1
_v_add_lshl_u32 v105, v3, v4, 0x0                  // scaleToBpe: accumulate d0 lower and *= bpe into Cin addr
v_cndmask_b32 v105, -1, v105, s[58:59]             // LDD clip if OOB. offset
/* (d1,vc1,d0,vc0)=(5,4,0,0) */
_v_add_co_u32 v1, vcc, v1, 1                       // coord1.1: coord1Vgpr += d1*sg1*VW + vc1

/* Fix for UseInitialStridesCD, emitAddressSetupCode */
_v_add_u32 v2, v2, s[sgprStrideC1J]                // ROWINC- Move cinRowPtr to next row
_v_add_u32 v3, v3, s[sgprStrideD1J]                // Move coutRowPtr to next row
v_cmp_lt_u32 s[54:55], v0, s[sgprSizeI]            // coord0 < size0
v_cmp_lt_u32 s[58:59], v1, s[sgprSizeJ]            // coord1 < size1
s_and_b64 s[58:59], s[54:55], s[58:59]             // in0 && in1
_v_add_lshl_u32 v107, v3, v0, 0x0                  // scaleToBpe: accumulate d0 lower and *= bpe into Cin addr
v_cndmask_b32 v107, -1, v107, s[58:59]             // LDD clip if OOB. offset
	;; [unrolled: 18-line block ×13, first 2 shown]
/* (d1,vc1,d0,vc0)=(5,15,0,1) */
_v_add_co_u32 v4, vcc, v0, 1                       // coord0.1: coord0 += d0*sg0*VW + vc0
v_cmp_lt_u32 s[54:55], v4, s[sgprSizeI]            // coord0 < size0
v_cmp_lt_u32 s[58:59], v1, s[sgprSizeJ]            // coord1 < size1
s_and_b64 s[58:59], s[54:55], s[58:59]             // in0 && in1
_v_add_lshl_u32 v156, v3, v4, 0x0                  // scaleToBpe: accumulate d0 lower and *= bpe into Cin addr
v_cndmask_b32 v156, -1, v156, s[58:59]             // LDD clip if OOB. offset
/* (d1,vc1,d0,vc0)=(6,0,0,0) */
_v_add_co_u32 v1, vcc, v1, 17                      // coord1.1: coord1Vgpr += d1*sg1*VW + vc1

/* Fix for UseInitialStridesCD, emitAddressSetupCode */
s_mul_i32 s54, s[sgprStrideC1J], 17                // scale stride
_v_add_u32 v2, v2, s54                             // ROWINC- Move cinRowPtr to next row
s_mul_i32 s54, s[sgprStrideD1J], 17                // scale stride
_v_add_u32 v3, v3, s54                             // Move coutRowPtr to next row
v_cmp_lt_u32 s[54:55], v0, s[sgprSizeI]            // coord0 < size0
v_cmp_lt_u32 s[58:59], v1, s[sgprSizeJ]            // coord1 < size1
s_and_b64 s[58:59], s[54:55], s[58:59]             // in0 && in1
_v_add_lshl_u32 v158, v3, v0, 0x0                  // scaleToBpe: accumulate d0 lower and *= bpe into Cin addr
v_cndmask_b32 v158, -1, v158, s[58:59]             // LDD clip if OOB. offset
/* (d1,vc1,d0,vc0)=(6,0,0,1) */
_v_add_co_u32 v4, vcc, v0, 1                       // coord0.1: coord0 += d0*sg0*VW + vc0
v_cmp_lt_u32 s[54:55], v4, s[sgprSizeI]            // coord0 < size0
v_cmp_lt_u32 s[58:59], v1, s[sgprSizeJ]            // coord1 < size1
s_and_b64 s[58:59], s[54:55], s[58:59]             // in0 && in1
_v_add_lshl_u32 v160, v3, v4, 0x0                  // scaleToBpe: accumulate d0 lower and *= bpe into Cin addr
v_cndmask_b32 v160, -1, v160, s[58:59]             // LDD clip if OOB. offset
/* (d1,vc1,d0,vc0)=(6,1,0,0) */
_v_add_co_u32 v1, vcc, v1, 1                       // coord1.1: coord1Vgpr += d1*sg1*VW + vc1

/* Fix for UseInitialStridesCD, emitAddressSetupCode */
_v_add_u32 v2, v2, s[sgprStrideC1J]                // ROWINC- Move cinRowPtr to next row
_v_add_u32 v3, v3, s[sgprStrideD1J]                // Move coutRowPtr to next row
v_cmp_lt_u32 s[54:55], v0, s[sgprSizeI]            // coord0 < size0
v_cmp_lt_u32 s[58:59], v1, s[sgprSizeJ]            // coord1 < size1
s_and_b64 s[58:59], s[54:55], s[58:59]             // in0 && in1
_v_add_lshl_u32 v162, v3, v0, 0x0                  // scaleToBpe: accumulate d0 lower and *= bpe into Cin addr
v_cndmask_b32 v162, -1, v162, s[58:59]             // LDD clip if OOB. offset
/* (d1,vc1,d0,vc0)=(6,1,0,1) */
_v_add_co_u32 v4, vcc, v0, 1                       // coord0.1: coord0 += d0*sg0*VW + vc0
v_cmp_lt_u32 s[54:55], v4, s[sgprSizeI]            // coord0 < size0
v_cmp_lt_u32 s[58:59], v1, s[sgprSizeJ]            // coord1 < size1
s_and_b64 s[58:59], s[54:55], s[58:59]             // in0 && in1
_v_add_lshl_u32 v164, v3, v4, 0x0                  // scaleToBpe: accumulate d0 lower and *= bpe into Cin addr
v_cndmask_b32 v164, -1, v164, s[58:59]             // LDD clip if OOB. offset
/* (d1,vc1,d0,vc0)=(6,2,0,0) */
_v_add_co_u32 v1, vcc, v1, 1                       // coord1.1: coord1Vgpr += d1*sg1*VW + vc1

/* Fix for UseInitialStridesCD, emitAddressSetupCode */
_v_add_u32 v2, v2, s[sgprStrideC1J]                // ROWINC- Move cinRowPtr to next row
_v_add_u32 v3, v3, s[sgprStrideD1J]                // Move coutRowPtr to next row
v_cmp_lt_u32 s[54:55], v0, s[sgprSizeI]            // coord0 < size0
v_cmp_lt_u32 s[58:59], v1, s[sgprSizeJ]            // coord1 < size1
s_and_b64 s[58:59], s[54:55], s[58:59]             // in0 && in1
_v_add_lshl_u32 v166, v3, v0, 0x0                  // scaleToBpe: accumulate d0 lower and *= bpe into Cin addr
v_cndmask_b32 v166, -1, v166, s[58:59]             // LDD clip if OOB. offset
/* (d1,vc1,d0,vc0)=(6,2,0,1) */
_v_add_co_u32 v4, vcc, v0, 1                       // coord0.1: coord0 += d0*sg0*VW + vc0
v_cmp_lt_u32 s[54:55], v4, s[sgprSizeI]            // coord0 < size0
v_cmp_lt_u32 s[58:59], v1, s[sgprSizeJ]            // coord1 < size1
s_and_b64 s[58:59], s[54:55], s[58:59]             // in0 && in1
_v_add_lshl_u32 v168, v3, v4, 0x0                  // scaleToBpe: accumulate d0 lower and *= bpe into Cin addr
v_cndmask_b32 v168, -1, v168, s[58:59]             // LDD clip if OOB. offset
/* (d1,vc1,d0,vc0)=(6,3,0,0) */
_v_add_co_u32 v1, vcc, v1, 1                       // coord1.1: coord1Vgpr += d1*sg1*VW + vc1

/* Fix for UseInitialStridesCD, emitAddressSetupCode */
_v_add_u32 v2, v2, s[sgprStrideC1J]                // ROWINC- Move cinRowPtr to next row
_v_add_u32 v3, v3, s[sgprStrideD1J]                // Move coutRowPtr to next row
v_cmp_lt_u32 s[54:55], v0, s[sgprSizeI]            // coord0 < size0
v_cmp_lt_u32 s[58:59], v1, s[sgprSizeJ]            // coord1 < size1
s_and_b64 s[58:59], s[54:55], s[58:59]             // in0 && in1
_v_add_lshl_u32 v170, v3, v0, 0x0                  // scaleToBpe: accumulate d0 lower and *= bpe into Cin addr
v_cndmask_b32 v170, -1, v170, s[58:59]             // LDD clip if OOB. offset
/* (d1,vc1,d0,vc0)=(6,3,0,1) */
_v_add_co_u32 v4, vcc, v0, 1                       // coord0.1: coord0 += d0*sg0*VW + vc0
v_cmp_lt_u32 s[54:55], v4, s[sgprSizeI]            // coord0 < size0
v_cmp_lt_u32 s[58:59], v1, s[sgprSizeJ]            // coord1 < size1
s_and_b64 s[58:59], s[54:55], s[58:59]             // in0 && in1
_v_add_lshl_u32 v172, v3, v4, 0x0                  // scaleToBpe: accumulate d0 lower and *= bpe into Cin addr
v_cndmask_b32 v172, -1, v172, s[58:59]             // LDD clip if OOB. offset
/* (d1,vc1,d0,vc0)=(6,4,0,0) */
_v_add_co_u32 v1, vcc, v1, 1                       // coord1.1: coord1Vgpr += d1*sg1*VW + vc1

/* Fix for UseInitialStridesCD, emitAddressSetupCode */
_v_add_u32 v2, v2, s[sgprStrideC1J]                // ROWINC- Move cinRowPtr to next row
_v_add_u32 v3, v3, s[sgprStrideD1J]                // Move coutRowPtr to next row
v_cmp_lt_u32 s[54:55], v0, s[sgprSizeI]            // coord0 < size0
v_cmp_lt_u32 s[58:59], v1, s[sgprSizeJ]            // coord1 < size1
s_and_b64 s[58:59], s[54:55], s[58:59]             // in0 && in1
_v_add_lshl_u32 v174, v3, v0, 0x0                  // scaleToBpe: accumulate d0 lower and *= bpe into Cin addr
v_cndmask_b32 v174, -1, v174, s[58:59]             // LDD clip if OOB. offset
/* (d1,vc1,d0,vc0)=(6,4,0,1) */
_v_add_co_u32 v4, vcc, v0, 1                       // coord0.1: coord0 += d0*sg0*VW + vc0
v_cmp_lt_u32 s[54:55], v4, s[sgprSizeI]            // coord0 < size0
v_cmp_lt_u32 s[58:59], v1, s[sgprSizeJ]            // coord1 < size1
s_and_b64 s[58:59], s[54:55], s[58:59]             // in0 && in1
_v_add_lshl_u32 v176, v3, v4, 0x0                  // scaleToBpe: accumulate d0 lower and *= bpe into Cin addr
v_cndmask_b32 v176, -1, v176, s[58:59]             // LDD clip if OOB. offset
/* (d1,vc1,d0,vc0)=(6,5,0,0) */
_v_add_co_u32 v1, vcc, v1, 1                       // coord1.1: coord1Vgpr += d1*sg1*VW + vc1

/* Fix for UseInitialStridesCD, emitAddressSetupCode */
_v_add_u32 v2, v2, s[sgprStrideC1J]                // ROWINC- Move cinRowPtr to next row
_v_add_u32 v3, v3, s[sgprStrideD1J]                // Move coutRowPtr to next row
v_cmp_lt_u32 s[54:55], v0, s[sgprSizeI]            // coord0 < size0
v_cmp_lt_u32 s[58:59], v1, s[sgprSizeJ]            // coord1 < size1
s_and_b64 s[58:59], s[54:55], s[58:59]             // in0 && in1
_v_add_lshl_u32 v178, v3, v0, 0x0                  // scaleToBpe: accumulate d0 lower and *= bpe into Cin addr
v_cndmask_b32 v178, -1, v178, s[58:59]             // LDD clip if OOB. offset
/* (d1,vc1,d0,vc0)=(6,5,0,1) */
_v_add_co_u32 v4, vcc, v0, 1                       // coord0.1: coord0 += d0*sg0*VW + vc0
v_cmp_lt_u32 s[54:55], v4, s[sgprSizeI]            // coord0 < size0
v_cmp_lt_u32 s[58:59], v1, s[sgprSizeJ]            // coord1 < size1
s_and_b64 s[58:59], s[54:55], s[58:59]             // in0 && in1
_v_add_lshl_u32 v180, v3, v4, 0x0                  // scaleToBpe: accumulate d0 lower and *= bpe into Cin addr
v_cndmask_b32 v180, -1, v180, s[58:59]             // LDD clip if OOB. offset
/* (d1,vc1,d0,vc0)=(6,6,0,0) */
_v_add_co_u32 v1, vcc, v1, 1                       // coord1.1: coord1Vgpr += d1*sg1*VW + vc1

/* Fix for UseInitialStridesCD, emitAddressSetupCode */
_v_add_u32 v2, v2, s[sgprStrideC1J]                // ROWINC- Move cinRowPtr to next row
_v_add_u32 v3, v3, s[sgprStrideD1J]                // Move coutRowPtr to next row
v_cmp_lt_u32 s[54:55], v0, s[sgprSizeI]            // coord0 < size0
v_cmp_lt_u32 s[58:59], v1, s[sgprSizeJ]            // coord1 < size1
s_and_b64 s[58:59], s[54:55], s[58:59]             // in0 && in1
_v_add_lshl_u32 v182, v3, v0, 0x0                  // scaleToBpe: accumulate d0 lower and *= bpe into Cin addr
v_cndmask_b32 v182, -1, v182, s[58:59]             // LDD clip if OOB. offset
/* (d1,vc1,d0,vc0)=(6,6,0,1) */
_v_add_co_u32 v4, vcc, v0, 1                       // coord0.1: coord0 += d0*sg0*VW + vc0
v_cmp_lt_u32 s[54:55], v4, s[sgprSizeI]            // coord0 < size0
v_cmp_lt_u32 s[58:59], v1, s[sgprSizeJ]            // coord1 < size1
s_and_b64 s[58:59], s[54:55], s[58:59]             // in0 && in1
_v_add_lshl_u32 v184, v3, v4, 0x0                  // scaleToBpe: accumulate d0 lower and *= bpe into Cin addr
v_cndmask_b32 v184, -1, v184, s[58:59]             // LDD clip if OOB. offset
/* (d1,vc1,d0,vc0)=(6,7,0,0) */
_v_add_co_u32 v1, vcc, v1, 1                       // coord1.1: coord1Vgpr += d1*sg1*VW + vc1

/* Fix for UseInitialStridesCD, emitAddressSetupCode */
_v_add_u32 v2, v2, s[sgprStrideC1J]                // ROWINC- Move cinRowPtr to next row
_v_add_u32 v3, v3, s[sgprStrideD1J]                // Move coutRowPtr to next row
v_cmp_lt_u32 s[54:55], v0, s[sgprSizeI]            // coord0 < size0
v_cmp_lt_u32 s[58:59], v1, s[sgprSizeJ]            // coord1 < size1
s_and_b64 s[58:59], s[54:55], s[58:59]             // in0 && in1
_v_add_lshl_u32 v186, v3, v0, 0x0                  // scaleToBpe: accumulate d0 lower and *= bpe into Cin addr
v_cndmask_b32 v186, -1, v186, s[58:59]             // LDD clip if OOB. offset
/* (d1,vc1,d0,vc0)=(6,7,0,1) */
_v_add_co_u32 v4, vcc, v0, 1                       // coord0.1: coord0 += d0*sg0*VW + vc0
v_cmp_lt_u32 s[54:55], v4, s[sgprSizeI]            // coord0 < size0
v_cmp_lt_u32 s[58:59], v1, s[sgprSizeJ]            // coord1 < size1
s_and_b64 s[58:59], s[54:55], s[58:59]             // in0 && in1
_v_add_lshl_u32 v188, v3, v4, 0x0                  // scaleToBpe: accumulate d0 lower and *= bpe into Cin addr
v_cndmask_b32 v188, -1, v188, s[58:59]             // LDD clip if OOB. offset
/* (d1,vc1,d0,vc0)=(6,8,0,0) */
_v_add_co_u32 v1, vcc, v1, 1                       // coord1.1: coord1Vgpr += d1*sg1*VW + vc1

/* Fix for UseInitialStridesCD, emitAddressSetupCode */
_v_add_u32 v2, v2, s[sgprStrideC1J]                // ROWINC- Move cinRowPtr to next row
_v_add_u32 v3, v3, s[sgprStrideD1J]                // Move coutRowPtr to next row
v_cmp_lt_u32 s[54:55], v0, s[sgprSizeI]            // coord0 < size0
v_cmp_lt_u32 s[58:59], v1, s[sgprSizeJ]            // coord1 < size1
s_and_b64 s[58:59], s[54:55], s[58:59]             // in0 && in1
_v_add_lshl_u32 v190, v3, v0, 0x0                  // scaleToBpe: accumulate d0 lower and *= bpe into Cin addr
v_cndmask_b32 v190, -1, v190, s[58:59]             // LDD clip if OOB. offset
/* (d1,vc1,d0,vc0)=(6,8,0,1) */
_v_add_co_u32 v4, vcc, v0, 1                       // coord0.1: coord0 += d0*sg0*VW + vc0
v_cmp_lt_u32 s[54:55], v4, s[sgprSizeI]            // coord0 < size0
v_cmp_lt_u32 s[58:59], v1, s[sgprSizeJ]            // coord1 < size1
s_and_b64 s[58:59], s[54:55], s[58:59]             // in0 && in1
_v_add_lshl_u32 v192, v3, v4, 0x0                  // scaleToBpe: accumulate d0 lower and *= bpe into Cin addr
v_cndmask_b32 v192, -1, v192, s[58:59]             // LDD clip if OOB. offset
/* (d1,vc1,d0,vc0)=(6,9,0,0) */
_v_add_co_u32 v1, vcc, v1, 1                       // coord1.1: coord1Vgpr += d1*sg1*VW + vc1

/* Fix for UseInitialStridesCD, emitAddressSetupCode */
_v_add_u32 v2, v2, s[sgprStrideC1J]                // ROWINC- Move cinRowPtr to next row
_v_add_u32 v3, v3, s[sgprStrideD1J]                // Move coutRowPtr to next row
v_cmp_lt_u32 s[54:55], v0, s[sgprSizeI]            // coord0 < size0
v_cmp_lt_u32 s[58:59], v1, s[sgprSizeJ]            // coord1 < size1
s_and_b64 s[58:59], s[54:55], s[58:59]             // in0 && in1
_v_add_lshl_u32 v194, v3, v0, 0x0                  // scaleToBpe: accumulate d0 lower and *= bpe into Cin addr
v_cndmask_b32 v194, -1, v194, s[58:59]             // LDD clip if OOB. offset
/* (d1,vc1,d0,vc0)=(6,9,0,1) */
_v_add_co_u32 v4, vcc, v0, 1                       // coord0.1: coord0 += d0*sg0*VW + vc0
v_cmp_lt_u32 s[54:55], v4, s[sgprSizeI]            // coord0 < size0
v_cmp_lt_u32 s[58:59], v1, s[sgprSizeJ]            // coord1 < size1
s_and_b64 s[58:59], s[54:55], s[58:59]             // in0 && in1
_v_add_lshl_u32 v196, v3, v4, 0x0                  // scaleToBpe: accumulate d0 lower and *= bpe into Cin addr
v_cndmask_b32 v196, -1, v196, s[58:59]             // LDD clip if OOB. offset
/* (d1,vc1,d0,vc0)=(6,10,0,0) */
_v_add_co_u32 v1, vcc, v1, 1                       // coord1.1: coord1Vgpr += d1*sg1*VW + vc1

/* Fix for UseInitialStridesCD, emitAddressSetupCode */
_v_add_u32 v2, v2, s[sgprStrideC1J]                // ROWINC- Move cinRowPtr to next row
_v_add_u32 v3, v3, s[sgprStrideD1J]                // Move coutRowPtr to next row
v_cmp_lt_u32 s[54:55], v0, s[sgprSizeI]            // coord0 < size0
v_cmp_lt_u32 s[58:59], v1, s[sgprSizeJ]            // coord1 < size1
s_and_b64 s[58:59], s[54:55], s[58:59]             // in0 && in1
_v_add_lshl_u32 v198, v3, v0, 0x0                  // scaleToBpe: accumulate d0 lower and *= bpe into Cin addr
v_cndmask_b32 v198, -1, v198, s[58:59]             // LDD clip if OOB. offset
/* (d1,vc1,d0,vc0)=(6,10,0,1) */
_v_add_co_u32 v4, vcc, v0, 1                       // coord0.1: coord0 += d0*sg0*VW + vc0
v_cmp_lt_u32 s[54:55], v4, s[sgprSizeI]            // coord0 < size0
v_cmp_lt_u32 s[58:59], v1, s[sgprSizeJ]            // coord1 < size1
s_and_b64 s[58:59], s[54:55], s[58:59]             // in0 && in1
_v_add_lshl_u32 v200, v3, v4, 0x0                  // scaleToBpe: accumulate d0 lower and *= bpe into Cin addr
v_cndmask_b32 v200, -1, v200, s[58:59]             // LDD clip if OOB. offset
/* (d1,vc1,d0,vc0)=(6,11,0,0) */
_v_add_co_u32 v1, vcc, v1, 1                       // coord1.1: coord1Vgpr += d1*sg1*VW + vc1

/* Fix for UseInitialStridesCD, emitAddressSetupCode */
_v_add_u32 v2, v2, s[sgprStrideC1J]                // ROWINC- Move cinRowPtr to next row
_v_add_u32 v3, v3, s[sgprStrideD1J]                // Move coutRowPtr to next row
v_cmp_lt_u32 s[54:55], v0, s[sgprSizeI]            // coord0 < size0
v_cmp_lt_u32 s[58:59], v1, s[sgprSizeJ]            // coord1 < size1
s_and_b64 s[58:59], s[54:55], s[58:59]             // in0 && in1
_v_add_lshl_u32 v202, v3, v0, 0x0                  // scaleToBpe: accumulate d0 lower and *= bpe into Cin addr
v_cndmask_b32 v202, -1, v202, s[58:59]             // LDD clip if OOB. offset
/* (d1,vc1,d0,vc0)=(6,11,0,1) */
_v_add_co_u32 v4, vcc, v0, 1                       // coord0.1: coord0 += d0*sg0*VW + vc0
v_cmp_lt_u32 s[54:55], v4, s[sgprSizeI]            // coord0 < size0
v_cmp_lt_u32 s[58:59], v1, s[sgprSizeJ]            // coord1 < size1
s_and_b64 s[58:59], s[54:55], s[58:59]             // in0 && in1
_v_add_lshl_u32 v204, v3, v4, 0x0                  // scaleToBpe: accumulate d0 lower and *= bpe into Cin addr
v_cndmask_b32 v204, -1, v204, s[58:59]             // LDD clip if OOB. offset
/* (d1,vc1,d0,vc0)=(6,12,0,0) */
_v_add_co_u32 v1, vcc, v1, 1                       // coord1.1: coord1Vgpr += d1*sg1*VW + vc1

/* Fix for UseInitialStridesCD, emitAddressSetupCode */
_v_add_u32 v2, v2, s[sgprStrideC1J]                // ROWINC- Move cinRowPtr to next row
_v_add_u32 v3, v3, s[sgprStrideD1J]                // Move coutRowPtr to next row
v_cmp_lt_u32 s[54:55], v0, s[sgprSizeI]            // coord0 < size0
v_cmp_lt_u32 s[58:59], v1, s[sgprSizeJ]            // coord1 < size1
s_and_b64 s[58:59], s[54:55], s[58:59]             // in0 && in1
_v_add_lshl_u32 v206, v3, v0, 0x0                  // scaleToBpe: accumulate d0 lower and *= bpe into Cin addr
v_cndmask_b32 v206, -1, v206, s[58:59]             // LDD clip if OOB. offset
/* (d1,vc1,d0,vc0)=(6,12,0,1) */
_v_add_co_u32 v4, vcc, v0, 1                       // coord0.1: coord0 += d0*sg0*VW + vc0
v_cmp_lt_u32 s[54:55], v4, s[sgprSizeI]            // coord0 < size0
v_cmp_lt_u32 s[58:59], v1, s[sgprSizeJ]            // coord1 < size1
s_and_b64 s[58:59], s[54:55], s[58:59]             // in0 && in1
_v_add_lshl_u32 v208, v3, v4, 0x0                  // scaleToBpe: accumulate d0 lower and *= bpe into Cin addr
v_cndmask_b32 v208, -1, v208, s[58:59]             // LDD clip if OOB. offset
/* (d1,vc1,d0,vc0)=(6,13,0,0) */
_v_add_co_u32 v1, vcc, v1, 1                       // coord1.1: coord1Vgpr += d1*sg1*VW + vc1

/* Fix for UseInitialStridesCD, emitAddressSetupCode */
_v_add_u32 v2, v2, s[sgprStrideC1J]                // ROWINC- Move cinRowPtr to next row
_v_add_u32 v3, v3, s[sgprStrideD1J]                // Move coutRowPtr to next row
v_cmp_lt_u32 s[54:55], v0, s[sgprSizeI]            // coord0 < size0
v_cmp_lt_u32 s[58:59], v1, s[sgprSizeJ]            // coord1 < size1
s_and_b64 s[58:59], s[54:55], s[58:59]             // in0 && in1
_v_add_lshl_u32 v210, v3, v0, 0x0                  // scaleToBpe: accumulate d0 lower and *= bpe into Cin addr
v_cndmask_b32 v210, -1, v210, s[58:59]             // LDD clip if OOB. offset
/* (d1,vc1,d0,vc0)=(6,13,0,1) */
_v_add_co_u32 v4, vcc, v0, 1                       // coord0.1: coord0 += d0*sg0*VW + vc0
v_cmp_lt_u32 s[54:55], v4, s[sgprSizeI]            // coord0 < size0
v_cmp_lt_u32 s[58:59], v1, s[sgprSizeJ]            // coord1 < size1
s_and_b64 s[58:59], s[54:55], s[58:59]             // in0 && in1
_v_add_lshl_u32 v212, v3, v4, 0x0                  // scaleToBpe: accumulate d0 lower and *= bpe into Cin addr
v_cndmask_b32 v212, -1, v212, s[58:59]             // LDD clip if OOB. offset
/* (d1,vc1,d0,vc0)=(6,14,0,0) */
_v_add_co_u32 v1, vcc, v1, 1                       // coord1.1: coord1Vgpr += d1*sg1*VW + vc1

/* Fix for UseInitialStridesCD, emitAddressSetupCode */
_v_add_u32 v2, v2, s[sgprStrideC1J]                // ROWINC- Move cinRowPtr to next row
_v_add_u32 v3, v3, s[sgprStrideD1J]                // Move coutRowPtr to next row
v_cmp_lt_u32 s[54:55], v0, s[sgprSizeI]            // coord0 < size0
v_cmp_lt_u32 s[58:59], v1, s[sgprSizeJ]            // coord1 < size1
s_and_b64 s[58:59], s[54:55], s[58:59]             // in0 && in1
_v_add_lshl_u32 v214, v3, v0, 0x0                  // scaleToBpe: accumulate d0 lower and *= bpe into Cin addr
v_cndmask_b32 v214, -1, v214, s[58:59]             // LDD clip if OOB. offset
/* (d1,vc1,d0,vc0)=(6,14,0,1) */
_v_add_co_u32 v4, vcc, v0, 1                       // coord0.1: coord0 += d0*sg0*VW + vc0
v_cmp_lt_u32 s[54:55], v4, s[sgprSizeI]            // coord0 < size0
v_cmp_lt_u32 s[58:59], v1, s[sgprSizeJ]            // coord1 < size1
s_and_b64 s[58:59], s[54:55], s[58:59]             // in0 && in1
_v_add_lshl_u32 v216, v3, v4, 0x0                  // scaleToBpe: accumulate d0 lower and *= bpe into Cin addr
v_cndmask_b32 v216, -1, v216, s[58:59]             // LDD clip if OOB. offset
/* (d1,vc1,d0,vc0)=(6,15,0,0) */
_v_add_co_u32 v1, vcc, v1, 1                       // coord1.1: coord1Vgpr += d1*sg1*VW + vc1

/* Fix for UseInitialStridesCD, emitAddressSetupCode */
_v_add_u32 v2, v2, s[sgprStrideC1J]                // ROWINC- Move cinRowPtr to next row
_v_add_u32 v3, v3, s[sgprStrideD1J]                // Move coutRowPtr to next row
v_cmp_lt_u32 s[54:55], v0, s[sgprSizeI]            // coord0 < size0
v_cmp_lt_u32 s[58:59], v1, s[sgprSizeJ]            // coord1 < size1
s_and_b64 s[58:59], s[54:55], s[58:59]             // in0 && in1
_v_add_lshl_u32 v218, v3, v0, 0x0                  // scaleToBpe: accumulate d0 lower and *= bpe into Cin addr
v_cndmask_b32 v218, -1, v218, s[58:59]             // LDD clip if OOB. offset
/* (d1,vc1,d0,vc0)=(6,15,0,1) */
_v_add_co_u32 v4, vcc, v0, 1                       // coord0.1: coord0 += d0*sg0*VW + vc0
v_cmp_lt_u32 s[54:55], v4, s[sgprSizeI]            // coord0 < size0
v_cmp_lt_u32 s[58:59], v1, s[sgprSizeJ]            // coord1 < size1
s_and_b64 s[58:59], s[54:55], s[58:59]             // in0 && in1
_v_add_lshl_u32 v220, v3, v4, 0x0                  // scaleToBpe: accumulate d0 lower and *= bpe into Cin addr
v_cndmask_b32 v220, -1, v220, s[58:59]             // LDD clip if OOB. offset
/* (d1,vc1,d0,vc0)=(7,0,0,0) */
_v_add_co_u32 v1, vcc, v1, 17                      // coord1.1: coord1Vgpr += d1*sg1*VW + vc1

/* Fix for UseInitialStridesCD, emitAddressSetupCode */
s_mul_i32 s54, s[sgprStrideC1J], 17                // scale stride
_v_add_u32 v2, v2, s54                             // ROWINC- Move cinRowPtr to next row
s_mul_i32 s54, s[sgprStrideD1J], 17                // scale stride
_v_add_u32 v3, v3, s54                             // Move coutRowPtr to next row
v_cmp_lt_u32 s[54:55], v0, s[sgprSizeI]            // coord0 < size0
v_cmp_lt_u32 s[58:59], v1, s[sgprSizeJ]            // coord1 < size1
s_and_b64 s[58:59], s[54:55], s[58:59]             // in0 && in1
_v_add_lshl_u32 v222, v3, v0, 0x0                  // scaleToBpe: accumulate d0 lower and *= bpe into Cin addr
v_cndmask_b32 v222, -1, v222, s[58:59]             // LDD clip if OOB. offset
/* (d1,vc1,d0,vc0)=(7,0,0,1) */
_v_add_co_u32 v4, vcc, v0, 1                       // coord0.1: coord0 += d0*sg0*VW + vc0
v_cmp_lt_u32 s[54:55], v4, s[sgprSizeI]            // coord0 < size0
v_cmp_lt_u32 s[58:59], v1, s[sgprSizeJ]            // coord1 < size1
s_and_b64 s[58:59], s[54:55], s[58:59]             // in0 && in1
_v_add_lshl_u32 v224, v3, v4, 0x0                  // scaleToBpe: accumulate d0 lower and *= bpe into Cin addr
v_cndmask_b32 v224, -1, v224, s[58:59]             // LDD clip if OOB. offset
/* (d1,vc1,d0,vc0)=(7,1,0,0) */
_v_add_co_u32 v1, vcc, v1, 1                       // coord1.1: coord1Vgpr += d1*sg1*VW + vc1

/* Fix for UseInitialStridesCD, emitAddressSetupCode */
_v_add_u32 v2, v2, s[sgprStrideC1J]                // ROWINC- Move cinRowPtr to next row
_v_add_u32 v3, v3, s[sgprStrideD1J]                // Move coutRowPtr to next row
v_cmp_lt_u32 s[54:55], v0, s[sgprSizeI]            // coord0 < size0
v_cmp_lt_u32 s[58:59], v1, s[sgprSizeJ]            // coord1 < size1
s_and_b64 s[58:59], s[54:55], s[58:59]             // in0 && in1
_v_add_lshl_u32 v226, v3, v0, 0x0                  // scaleToBpe: accumulate d0 lower and *= bpe into Cin addr
v_cndmask_b32 v226, -1, v226, s[58:59]             // LDD clip if OOB. offset
/* (d1,vc1,d0,vc0)=(7,1,0,1) */
_v_add_co_u32 v4, vcc, v0, 1                       // coord0.1: coord0 += d0*sg0*VW + vc0
v_cmp_lt_u32 s[54:55], v4, s[sgprSizeI]            // coord0 < size0
v_cmp_lt_u32 s[58:59], v1, s[sgprSizeJ]            // coord1 < size1
s_and_b64 s[58:59], s[54:55], s[58:59]             // in0 && in1
_v_add_lshl_u32 v228, v3, v4, 0x0                  // scaleToBpe: accumulate d0 lower and *= bpe into Cin addr
v_cndmask_b32 v228, -1, v228, s[58:59]             // LDD clip if OOB. offset
/* (d1,vc1,d0,vc0)=(7,2,0,0) */
_v_add_co_u32 v1, vcc, v1, 1                       // coord1.1: coord1Vgpr += d1*sg1*VW + vc1

/* Fix for UseInitialStridesCD, emitAddressSetupCode */
_v_add_u32 v2, v2, s[sgprStrideC1J]                // ROWINC- Move cinRowPtr to next row
_v_add_u32 v3, v3, s[sgprStrideD1J]                // Move coutRowPtr to next row
	;; [unrolled: 18-line block ×7, first 2 shown]
v_cmp_lt_u32 s[54:55], v0, s[sgprSizeI]            // coord0 < size0
v_cmp_lt_u32 s[58:59], v1, s[sgprSizeJ]            // coord1 < size1
s_and_b64 s[58:59], s[54:55], s[58:59]             // in0 && in1
_v_add_lshl_u32 v250, v3, v0, 0x0                  // scaleToBpe: accumulate d0 lower and *= bpe into Cin addr
v_cndmask_b32 v250, -1, v250, s[58:59]             // LDD clip if OOB. offset
/* (d1,vc1,d0,vc0)=(7,7,0,1) */
_v_add_co_u32 v4, vcc, v0, 1                       // coord0.1: coord0 += d0*sg0*VW + vc0
v_cmp_lt_u32 s[54:55], v4, s[sgprSizeI]            // coord0 < size0
v_cmp_lt_u32 s[58:59], v1, s[sgprSizeJ]            // coord1 < size1
s_and_b64 s[58:59], s[54:55], s[58:59]             // in0 && in1
_v_add_lshl_u32 v252, v3, v4, 0x0                  // scaleToBpe: accumulate d0 lower and *= bpe into Cin addr
v_cndmask_b32 v252, -1, v252, s[58:59]             // LDD clip if OOB. offset
v_accvgpr_read_b32 v[vgprValuC+12], acc15 // copy acc to vreg[120]
v_accvgpr_read_b32 v[vgprValuC+14], acc31 // copy acc to vreg[121]
v_accvgpr_read_b32 v[vgprValuC+16], acc47 // copy acc to vreg[122]
v_accvgpr_read_b32 v[vgprValuC+18], acc63 // copy acc to vreg[123]
v_accvgpr_read_b32 v[vgprValuC+20], acc79 // copy acc to vreg[124]
v_accvgpr_read_b32 v[vgprValuC+22], acc95 // copy acc to vreg[125]
v_accvgpr_read_b32 v[vgprValuC+24], acc111 // copy acc to vreg[126]
v_accvgpr_read_b32 v[vgprValuC+26], acc127 // copy acc to vreg[127]
v_accvgpr_read_b32 v[vgprValuC+28], acc128 // copy acc to vreg[128]
v_accvgpr_read_b32 v[vgprValuC+30], acc144 // copy acc to vreg[129]
v_accvgpr_read_b32 v[vgprValuC+32], acc160 // copy acc to vreg[130]
v_accvgpr_read_b32 v[vgprValuC+34], acc176 // copy acc to vreg[131]
v_accvgpr_read_b32 v[vgprValuC+36], acc192 // copy acc to vreg[132]
v_accvgpr_read_b32 v[vgprValuC+38], acc208 // copy acc to vreg[133]
v_accvgpr_read_b32 v[vgprValuC+40], acc224 // copy acc to vreg[134]
v_accvgpr_read_b32 v[vgprValuC+42], acc240 // copy acc to vreg[135]
v_accvgpr_read_b32 v[vgprValuC+44], acc129 // copy acc to vreg[136]
v_accvgpr_read_b32 v[vgprValuC+46], acc145 // copy acc to vreg[137]
v_accvgpr_read_b32 v[vgprValuC+48], acc161 // copy acc to vreg[138]
v_accvgpr_read_b32 v[vgprValuC+50], acc177 // copy acc to vreg[139]
v_accvgpr_read_b32 v[vgprValuC+52], acc193 // copy acc to vreg[140]
v_accvgpr_read_b32 v[vgprValuC+54], acc209 // copy acc to vreg[141]
v_accvgpr_read_b32 v[vgprValuC+56], acc225 // copy acc to vreg[142]
v_accvgpr_read_b32 v[vgprValuC+58], acc241 // copy acc to vreg[143]
v_accvgpr_read_b32 v[vgprValuC+60], acc130 // copy acc to vreg[144]
v_accvgpr_read_b32 v[vgprValuC+62], acc146 // copy acc to vreg[145]
v_accvgpr_read_b32 v[vgprValuC+64], acc162 // copy acc to vreg[146]
v_accvgpr_read_b32 v[vgprValuC+66], acc178 // copy acc to vreg[147]
v_accvgpr_read_b32 v[vgprValuC+68], acc194 // copy acc to vreg[148]
v_accvgpr_read_b32 v[vgprValuC+70], acc210 // copy acc to vreg[149]
v_accvgpr_read_b32 v[vgprValuC+72], acc226 // copy acc to vreg[150]
v_accvgpr_read_b32 v[vgprValuC+74], acc242 // copy acc to vreg[151]
v_accvgpr_read_b32 v[vgprValuC+76], acc131 // copy acc to vreg[152]
v_accvgpr_read_b32 v[vgprValuC+78], acc147 // copy acc to vreg[153]
v_accvgpr_read_b32 v[vgprValuC+80], acc163 // copy acc to vreg[154]
v_accvgpr_read_b32 v[vgprValuC+82], acc179 // copy acc to vreg[155]
v_accvgpr_read_b32 v[vgprValuC+84], acc195 // copy acc to vreg[156]
v_accvgpr_read_b32 v[vgprValuC+86], acc211 // copy acc to vreg[157]
v_accvgpr_read_b32 v[vgprValuC+88], acc227 // copy acc to vreg[158]
v_accvgpr_read_b32 v[vgprValuC+90], acc243 // copy acc to vreg[159]
v_accvgpr_read_b32 v[vgprValuC+92], acc132 // copy acc to vreg[160]
v_accvgpr_read_b32 v[vgprValuC+94], acc148 // copy acc to vreg[161]
v_accvgpr_read_b32 v[vgprValuC+96], acc164 // copy acc to vreg[162]
v_accvgpr_read_b32 v[vgprValuC+98], acc180 // copy acc to vreg[163]
v_accvgpr_read_b32 v[vgprValuC+100], acc196 // copy acc to vreg[164]
v_accvgpr_read_b32 v[vgprValuC+102], acc212 // copy acc to vreg[165]
v_accvgpr_read_b32 v[vgprValuC+104], acc228 // copy acc to vreg[166]
v_accvgpr_read_b32 v[vgprValuC+106], acc244 // copy acc to vreg[167]
v_accvgpr_read_b32 v[vgprValuC+108], acc133 // copy acc to vreg[168]
v_accvgpr_read_b32 v[vgprValuC+110], acc149 // copy acc to vreg[169]
v_accvgpr_read_b32 v[vgprValuC+112], acc165 // copy acc to vreg[170]
v_accvgpr_read_b32 v[vgprValuC+114], acc181 // copy acc to vreg[171]
v_accvgpr_read_b32 v[vgprValuC+119], acc197 // copy acc to vreg[172]
v_accvgpr_read_b32 v[vgprValuC+121], acc213 // copy acc to vreg[173]
v_accvgpr_read_b32 v[vgprValuC+123], acc229 // copy acc to vreg[174]
v_accvgpr_read_b32 v[vgprValuC+125], acc245 // copy acc to vreg[175]
v_accvgpr_read_b32 v[vgprValuC+127], acc134 // copy acc to vreg[176]
v_accvgpr_read_b32 v[vgprValuC+129], acc150 // copy acc to vreg[177]
v_accvgpr_read_b32 v[vgprValuC+131], acc166 // copy acc to vreg[178]
v_accvgpr_read_b32 v[vgprValuC+133], acc182 // copy acc to vreg[179]
v_accvgpr_read_b32 v[vgprValuC+135], acc198 // copy acc to vreg[180]
v_accvgpr_read_b32 v[vgprValuC+137], acc214 // copy acc to vreg[181]
v_accvgpr_read_b32 v[vgprValuC+139], acc230 // copy acc to vreg[182]
v_accvgpr_read_b32 v[vgprValuC+141], acc246 // copy acc to vreg[183]
v_accvgpr_read_b32 v[vgprValuC+143], acc135 // copy acc to vreg[184]
v_accvgpr_read_b32 v[vgprValuC+145], acc151 // copy acc to vreg[185]
v_accvgpr_read_b32 v[vgprValuC+147], acc167 // copy acc to vreg[186]
v_accvgpr_read_b32 v[vgprValuC+149], acc183 // copy acc to vreg[187]
v_accvgpr_read_b32 v[vgprValuC+151], acc199 // copy acc to vreg[188]
v_accvgpr_read_b32 v[vgprValuC+153], acc215 // copy acc to vreg[189]
v_accvgpr_read_b32 v[vgprValuC+155], acc231 // copy acc to vreg[190]
v_accvgpr_read_b32 v[vgprValuC+157], acc247 // copy acc to vreg[191]
v_accvgpr_read_b32 v[vgprValuC+159], acc136 // copy acc to vreg[192]
v_accvgpr_read_b32 v[vgprValuC+161], acc152 // copy acc to vreg[193]
v_accvgpr_read_b32 v[vgprValuC+163], acc168 // copy acc to vreg[194]
v_accvgpr_read_b32 v[vgprValuC+165], acc184 // copy acc to vreg[195]
v_accvgpr_read_b32 v[vgprValuC+167], acc200 // copy acc to vreg[196]
v_accvgpr_read_b32 v[vgprValuC+169], acc216 // copy acc to vreg[197]
v_accvgpr_read_b32 v[vgprValuC+171], acc232 // copy acc to vreg[198]
v_accvgpr_read_b32 v[vgprValuC+173], acc248 // copy acc to vreg[199]
v_accvgpr_read_b32 v[vgprValuC+175], acc137 // copy acc to vreg[200]
v_accvgpr_read_b32 v[vgprValuC+177], acc153 // copy acc to vreg[201]
v_accvgpr_read_b32 v[vgprValuC+179], acc169 // copy acc to vreg[202]
v_accvgpr_read_b32 v[vgprValuC+181], acc185 // copy acc to vreg[203]
v_accvgpr_read_b32 v[vgprValuC+183], acc201 // copy acc to vreg[204]
v_accvgpr_read_b32 v[vgprValuC+185], acc217 // copy acc to vreg[205]
v_accvgpr_read_b32 v[vgprValuC+187], acc233 // copy acc to vreg[206]
v_accvgpr_read_b32 v[vgprValuC+189], acc249 // copy acc to vreg[207]
v_accvgpr_read_b32 v[vgprValuC+191], acc138 // copy acc to vreg[208]
v_accvgpr_read_b32 v[vgprValuC+193], acc154 // copy acc to vreg[209]
v_accvgpr_read_b32 v[vgprValuC+195], acc170 // copy acc to vreg[210]
v_accvgpr_read_b32 v[vgprValuC+197], acc186 // copy acc to vreg[211]
v_accvgpr_read_b32 v[vgprValuC+199], acc202 // copy acc to vreg[212]
v_accvgpr_read_b32 v[vgprValuC+201], acc218 // copy acc to vreg[213]
v_accvgpr_read_b32 v[vgprValuC+203], acc234 // copy acc to vreg[214]
v_accvgpr_read_b32 v[vgprValuC+205], acc250 // copy acc to vreg[215]
v_accvgpr_read_b32 v[vgprValuC+207], acc139 // copy acc to vreg[216]
v_accvgpr_read_b32 v[vgprValuC+209], acc155 // copy acc to vreg[217]
v_accvgpr_read_b32 v[vgprValuC+211], acc171 // copy acc to vreg[218]
v_accvgpr_read_b32 v[vgprValuC+213], acc187 // copy acc to vreg[219]
v_accvgpr_read_b32 v[vgprValuC+215], acc203 // copy acc to vreg[220]
v_accvgpr_read_b32 v[vgprValuC+217], acc219 // copy acc to vreg[221]
v_accvgpr_read_b32 v[vgprValuC+219], acc235 // copy acc to vreg[222]
v_accvgpr_read_b32 v[vgprValuC+221], acc251 // copy acc to vreg[223]
v_accvgpr_read_b32 v[vgprValuC+223], acc140 // copy acc to vreg[224]
v_accvgpr_read_b32 v[vgprValuC+225], acc156 // copy acc to vreg[225]
v_accvgpr_read_b32 v[vgprValuC+227], acc172 // copy acc to vreg[226]
v_accvgpr_read_b32 v[vgprValuC+229], acc188 // copy acc to vreg[227]
v_accvgpr_read_b32 v[vgprValuC+231], acc204 // copy acc to vreg[228]
v_accvgpr_read_b32 v[vgprValuC+233], acc220 // copy acc to vreg[229]
v_accvgpr_read_b32 v[vgprValuC+235], acc236 // copy acc to vreg[230]
v_accvgpr_read_b32 v[vgprValuC+237], acc252 // copy acc to vreg[231]
v_accvgpr_read_b32 v[vgprValuC+239], acc141 // copy acc to vreg[232]
v_accvgpr_read_b32 v[vgprValuC+241], acc157 // copy acc to vreg[233]
v_accvgpr_read_b32 v[vgprValuC+243], acc173 // copy acc to vreg[234]
v_accvgpr_read_b32 v[vgprValuC+245], acc189 // copy acc to vreg[235]
v_accvgpr_read_b32 v[vgprValuC+247], acc205 // copy acc to vreg[236]
v_accvgpr_read_b32 v[vgprValuC+249], acc221 // copy acc to vreg[237]
v_accvgpr_read_b32 v[vgprValuC+251], acc237 // copy acc to vreg[238]
v_accvgpr_read_b32 v[vgprValuC+253], acc253 // copy acc to vreg[239]
s_nop 1                                            // 2 wait states required before reading vgpr

/* rC *= alpha batchElements=[(3, 0, 12, 0), (3, 0, 12, 1), (3, 0, 13, 0), (3, 0, 13, 1), (3, 0, 14, 0), (3, 0, 14, 1), (3, 0, 15, 0), (3, 0, 15, 1), (4, 0, 0, 0), (4, 0, 0, 1), (4, 0, 1, 0), (4, 0, 1, 1), (4, 0, 2, 0), (4, 0, 2, 1), (4, 0, 3, 0), (4, 0, 3, 1), (4, 0, 4, 0), (4, 0, 4, 1), (4, 0, 5, 0), (4, 0, 5, 1), (4, 0, 6, 0), (4, 0, 6, 1), (4, 0, 7, 0), (4, 0, 7, 1), (4, 0, 8, 0), (4, 0, 8, 1), (4, 0, 9, 0), (4, 0, 9, 1), (4, 0, 10, 0), (4, 0, 10, 1), (4, 0, 11, 0), (4, 0, 11, 1), (4, 0, 12, 0), (4, 0, 12, 1), (4, 0, 13, 0), (4, 0, 13, 1), (4, 0, 14, 0), (4, 0, 14, 1), (4, 0, 15, 0), (4, 0, 15, 1), (5, 0, 0, 0), (5, 0, 0, 1), (5, 0, 1, 0), (5, 0, 1, 1), (5, 0, 2, 0), (5, 0, 2, 1), (5, 0, 3, 0), (5, 0, 3, 1), (5, 0, 4, 0), (5, 0, 4, 1), (5, 0, 5, 0), (5, 0, 5, 1), (5, 0, 6, 0), (5, 0, 6, 1), (5, 0, 7, 0), (5, 0, 7, 1), (5, 0, 8, 0), (5, 0, 8, 1), (5, 0, 9, 0), (5, 0, 9, 1), (5, 0, 10, 0), (5, 0, 10, 1), (5, 0, 11, 0), (5, 0, 11, 1), (5, 0, 12, 0), (5, 0, 12, 1), (5, 0, 13, 0), (5, 0, 13, 1), (5, 0, 14, 0), (5, 0, 14, 1), (5, 0, 15, 0), (5, 0, 15, 1), (6, 0, 0, 0), (6, 0, 0, 1), (6, 0, 1, 0), (6, 0, 1, 1), (6, 0, 2, 0), (6, 0, 2, 1), (6, 0, 3, 0), (6, 0, 3, 1), (6, 0, 4, 0), (6, 0, 4, 1), (6, 0, 5, 0), (6, 0, 5, 1), (6, 0, 6, 0), (6, 0, 6, 1), (6, 0, 7, 0), (6, 0, 7, 1), (6, 0, 8, 0), (6, 0, 8, 1), (6, 0, 9, 0), (6, 0, 9, 1), (6, 0, 10, 0), (6, 0, 10, 1), (6, 0, 11, 0), (6, 0, 11, 1), (6, 0, 12, 0), (6, 0, 12, 1), (6, 0, 13, 0), (6, 0, 13, 1), (6, 0, 14, 0), (6, 0, 14, 1), (6, 0, 15, 0), (6, 0, 15, 1), (7, 0, 0, 0), (7, 0, 0, 1), (7, 0, 1, 0), (7, 0, 1, 1), (7, 0, 2, 0), (7, 0, 2, 1), (7, 0, 3, 0), (7, 0, 3, 1), (7, 0, 4, 0), (7, 0, 4, 1), (7, 0, 5, 0), (7, 0, 5, 1), (7, 0, 6, 0), (7, 0, 6, 1), (7, 0, 7, 0), (7, 0, 7, 1)] */
v_mul_f32 v[vgprValuC+12], s[sgprAlpha], v[vgprValuC+12] // *= alpha
v_mul_f32 v[vgprValuC+14], s[sgprAlpha], v[vgprValuC+14] // *= alpha
	;; [unrolled: 1-line block ×120, first 2 shown]

/* apply mask, calc new C and issue writes */
v_mov_b32 v10, 0x207                               // flag for Nan and +/- inf
v_mov_b32 v8, 0x43700000                           // save 240.0f as max for clipping
v_mov_b32 v9, 0xC3700000                           // save -240.0f as min for clipping
v_cmp_class_f32 s[54:55], v[vgprValuC+12], v10     // check NaN and +/-INF
v_med3_f32 v6, v[vgprValuC+12], v8, v9             // Clipping f32 value if exceeds the limit
v_cndmask_b32 v6, v6, v[vgprValuC+12], s[54:55]    // 
v_cvt_pk_fp8_f32  v12, v6, v6                      // convert f32 accumulated values to fp8
buffer_store_byte v12, v11, s[sgprSrdD:sgprSrdD+3], 0, offen, offset:0 // store D
v_cmp_class_f32 s[54:55], v[vgprValuC+14], v10     // check NaN and +/-INF
v_med3_f32 v6, v[vgprValuC+14], v8, v9             // Clipping f32 value if exceeds the limit
v_cndmask_b32 v6, v6, v[vgprValuC+14], s[54:55]    // 
v_cvt_pk_fp8_f32  v14, v6, v6                      // convert f32 accumulated values to fp8
buffer_store_byte v14, v13, s[sgprSrdD:sgprSrdD+3], 0, offen, offset:0 // store D
	;; [unrolled: 5-line block ×44, first 2 shown]
v_cmp_class_f32 s[54:55], v[vgprValuC+100], v10    // check NaN and +/-INF
v_med3_f32 v6, v[vgprValuC+100], v8, v9            // Clipping f32 value if exceeds the limit
v_cndmask_b32 v6, v6, v[vgprValuC+100], s[54:55]   // 
v_cvt_pk_fp8_f32  v100, v6, v6                     // convert f32 accumulated values to fp8
buffer_store_byte v100, v99, s[sgprSrdD:sgprSrdD+3], 0, offen, offset:0 // store D
v_cmp_class_f32 s[54:55], v[vgprValuC+102], v10    // check NaN and +/-INF
v_med3_f32 v6, v[vgprValuC+102], v8, v9            // Clipping f32 value if exceeds the limit
v_cndmask_b32 v6, v6, v[vgprValuC+102], s[54:55]   // 
v_cvt_pk_fp8_f32  v102, v6, v6                     // convert f32 accumulated values to fp8
buffer_store_byte v102, v101, s[sgprSrdD:sgprSrdD+3], 0, offen, offset:0 // store D
	;; [unrolled: 5-line block ×76, first 2 shown]
s_nop 0                                            // 1 wait state required when next inst writes vgprs held by previous dwordx4 store inst
/* optSingleColVgpr=0 optSharedColVgpr=0 optSGPRUsage=BufferLoad_Edge_Mask optSrdIncForRow=0 */

/******************************************/
/* Global Write Alpha Edge Batch #2 (d1,d0,vc1,vc0) = */
/*    (7,0,8,0:vw1); (7,0,8,1:vw1); (7,0,9,0:vw1); (7,0,9,1:vw1); (7,0,10,0:vw1); (7,0,10,1:vw1); (7,0,11,0:vw1); (7,0,11,1:vw1); (7,0,12,0:vw1); (7,0,12,1:vw1); (7,0,13,0:vw1); (7,0,13,1:vw1); (7,0,14,0:vw1); (7,0,14,1:vw1); (7,0,15,0:vw1); (7,0,15,1:vw1) */
/******************************************/

/* calc coords, apply mask, and issue loads (if necessary) */
/* (d1,vc1,d0,vc0)=(7,8,0,0) */
_v_add_co_u32 v1, vcc, v1, 1                       // coord1.1: coord1Vgpr += d1*sg1*VW + vc1

/* Fix for UseInitialStridesCD, emitAddressSetupCode */
_v_add_u32 v2, v2, s[sgprStrideC1J]                // ROWINC- Move cinRowPtr to next row
_v_add_u32 v3, v3, s[sgprStrideD1J]                // Move coutRowPtr to next row
v_cmp_lt_u32 s[54:55], v0, s[sgprSizeI]            // coord0 < size0
v_cmp_lt_u32 s[58:59], v1, s[sgprSizeJ]            // coord1 < size1
s_and_b64 s[58:59], s[54:55], s[58:59]             // in0 && in1
_v_add_lshl_u32 v11, v3, v0, 0x0                   // scaleToBpe: accumulate d0 lower and *= bpe into Cin addr
v_cndmask_b32 v11, -1, v11, s[58:59]               // LDD clip if OOB. offset
/* (d1,vc1,d0,vc0)=(7,8,0,1) */
_v_add_co_u32 v4, vcc, v0, 1                       // coord0.1: coord0 += d0*sg0*VW + vc0
v_cmp_lt_u32 s[54:55], v4, s[sgprSizeI]            // coord0 < size0
v_cmp_lt_u32 s[58:59], v1, s[sgprSizeJ]            // coord1 < size1
s_and_b64 s[58:59], s[54:55], s[58:59]             // in0 && in1
_v_add_lshl_u32 v13, v3, v4, 0x0                   // scaleToBpe: accumulate d0 lower and *= bpe into Cin addr
v_cndmask_b32 v13, -1, v13, s[58:59]               // LDD clip if OOB. offset
/* (d1,vc1,d0,vc0)=(7,9,0,0) */
_v_add_co_u32 v1, vcc, v1, 1                       // coord1.1: coord1Vgpr += d1*sg1*VW + vc1

/* Fix for UseInitialStridesCD, emitAddressSetupCode */
_v_add_u32 v2, v2, s[sgprStrideC1J]                // ROWINC- Move cinRowPtr to next row
_v_add_u32 v3, v3, s[sgprStrideD1J]                // Move coutRowPtr to next row
v_cmp_lt_u32 s[54:55], v0, s[sgprSizeI]            // coord0 < size0
v_cmp_lt_u32 s[58:59], v1, s[sgprSizeJ]            // coord1 < size1
s_and_b64 s[58:59], s[54:55], s[58:59]             // in0 && in1
_v_add_lshl_u32 v15, v3, v0, 0x0                   // scaleToBpe: accumulate d0 lower and *= bpe into Cin addr
v_cndmask_b32 v15, -1, v15, s[58:59]               // LDD clip if OOB. offset
/* (d1,vc1,d0,vc0)=(7,9,0,1) */
_v_add_co_u32 v4, vcc, v0, 1                       // coord0.1: coord0 += d0*sg0*VW + vc0
v_cmp_lt_u32 s[54:55], v4, s[sgprSizeI]            // coord0 < size0
v_cmp_lt_u32 s[58:59], v1, s[sgprSizeJ]            // coord1 < size1
s_and_b64 s[58:59], s[54:55], s[58:59]             // in0 && in1
_v_add_lshl_u32 v17, v3, v4, 0x0                   // scaleToBpe: accumulate d0 lower and *= bpe into Cin addr
v_cndmask_b32 v17, -1, v17, s[58:59]               // LDD clip if OOB. offset
	;; [unrolled: 18-line block ×8, first 2 shown]
v_accvgpr_read_b32 v[vgprValuC+12], acc142 // copy acc to vreg[240]
v_accvgpr_read_b32 v[vgprValuC+14], acc158 // copy acc to vreg[241]
v_accvgpr_read_b32 v[vgprValuC+16], acc174 // copy acc to vreg[242]
v_accvgpr_read_b32 v[vgprValuC+18], acc190 // copy acc to vreg[243]
v_accvgpr_read_b32 v[vgprValuC+20], acc206 // copy acc to vreg[244]
v_accvgpr_read_b32 v[vgprValuC+22], acc222 // copy acc to vreg[245]
v_accvgpr_read_b32 v[vgprValuC+24], acc238 // copy acc to vreg[246]
v_accvgpr_read_b32 v[vgprValuC+26], acc254 // copy acc to vreg[247]
v_accvgpr_read_b32 v[vgprValuC+28], acc143 // copy acc to vreg[248]
v_accvgpr_read_b32 v[vgprValuC+30], acc159 // copy acc to vreg[249]
v_accvgpr_read_b32 v[vgprValuC+32], acc175 // copy acc to vreg[250]
v_accvgpr_read_b32 v[vgprValuC+34], acc191 // copy acc to vreg[251]
v_accvgpr_read_b32 v[vgprValuC+36], acc207 // copy acc to vreg[252]
v_accvgpr_read_b32 v[vgprValuC+38], acc223 // copy acc to vreg[253]
v_accvgpr_read_b32 v[vgprValuC+40], acc239 // copy acc to vreg[254]
v_accvgpr_read_b32 v[vgprValuC+42], acc255 // copy acc to vreg[255]
s_nop 1                                            // 2 wait states required before reading vgpr

/* rC *= alpha batchElements=[(7, 0, 8, 0), (7, 0, 8, 1), (7, 0, 9, 0), (7, 0, 9, 1), (7, 0, 10, 0), (7, 0, 10, 1), (7, 0, 11, 0), (7, 0, 11, 1), (7, 0, 12, 0), (7, 0, 12, 1), (7, 0, 13, 0), (7, 0, 13, 1), (7, 0, 14, 0), (7, 0, 14, 1), (7, 0, 15, 0), (7, 0, 15, 1)] */
v_mul_f32 v[vgprValuC+12], s[sgprAlpha], v[vgprValuC+12] // *= alpha
v_mul_f32 v[vgprValuC+14], s[sgprAlpha], v[vgprValuC+14] // *= alpha
	;; [unrolled: 1-line block ×16, first 2 shown]

/* apply mask, calc new C and issue writes */
v_mov_b32 v10, 0x207                               // flag for Nan and +/- inf
v_mov_b32 v8, 0x43700000                           // save 240.0f as max for clipping
v_mov_b32 v9, 0xC3700000                           // save -240.0f as min for clipping
v_cmp_class_f32 s[54:55], v[vgprValuC+12], v10     // check NaN and +/-INF
v_med3_f32 v6, v[vgprValuC+12], v8, v9             // Clipping f32 value if exceeds the limit
v_cndmask_b32 v6, v6, v[vgprValuC+12], s[54:55]    // 
v_cvt_pk_fp8_f32  v12, v6, v6                      // convert f32 accumulated values to fp8
buffer_store_byte v12, v11, s[sgprSrdD:sgprSrdD+3], 0, offen, offset:0 // store D
v_cmp_class_f32 s[54:55], v[vgprValuC+14], v10     // check NaN and +/-INF
v_med3_f32 v6, v[vgprValuC+14], v8, v9             // Clipping f32 value if exceeds the limit
v_cndmask_b32 v6, v6, v[vgprValuC+14], s[54:55]    // 
v_cvt_pk_fp8_f32  v14, v6, v6                      // convert f32 accumulated values to fp8
buffer_store_byte v14, v13, s[sgprSrdD:sgprSrdD+3], 0, offen, offset:0 // store D
	;; [unrolled: 5-line block ×16, first 2 shown]
s_nop 0                                            // 1 wait state required when next inst writes vgprs held by previous dwordx4 store inst
s_branch label_GW_End_44                           // jump to end
GW_Beta_45:
s_and_b32 s54, 255, s[sgprSizeI]                   // s54 = s[sgprSizeI] % 256
s_add_u32 s55, -0x1, s[sgprNumWorkGroups0]         // 
s_cmp_ge_u32 s[sgprWorkGroup0], s55                // wg0 >= nwg0-1 ?
s_cselect_b32 s54, s54, 0                          // set rMT0
s_cmpk_gt_u32 s54, 0x0                             // rMT0 > 0
s_cbranch_scc1 GW_B1_E1_43                         // jump if edges required
s_and_b32 s54, 255, s[sgprSizeJ]                   // s54 = s[sgprSizeJ] % 256
s_add_u32 s55, -0x1, s[sgprNumWorkGroups1]         // 
s_cmp_ge_u32 s[sgprWorkGroup1], s55                // wg1 >= nwg1-1
s_cselect_b32 s54, s54, 0                          // set rMT1
s_cmpk_gt_u32 s54, 0x0                             // rMT1 > 0
s_cbranch_scc1 GW_B1_E1_43                         // jump if edges required
GW_B1_E0_40:

/* edge=0, allocate 2 sgpr. perBatchTmpS=2 perBatchMaskS=0 perElementMaskS=0 elementsPerBatch=79 */
/* optSingleColVgpr=1 optSharedColVgpr=0 optSGPRUsage=BufferLoad_Mask optSrdIncForRow=1 */

/******************************************/
/* Global Write Alpha Beta Batch #0 (d1,d0,vc1,vc0) = */
/*    (0,0,0,0:vw2); (0,0,1,0:vw2); (0,0,2,0:vw2); (0,0,3,0:vw2); (0,0,4,0:vw2); (0,0,5,0:vw2); (0,0,6,0:vw2); (0,0,7,0:vw2); (0,0,8,0:vw2); (0,0,9,0:vw2); (0,0,10,0:vw2); (0,0,11,0:vw2); (0,0,12,0:vw2); (0,0,13,0:vw2); (0,0,14,0:vw2); (0,0,15,0:vw2); (1,0,0,0:vw2); (1,0,1,0:vw2); (1,0,2,0:vw2); (1,0,3,0:vw2); (1,0,4,0:vw2); (1,0,5,0:vw2); (1,0,6,0:vw2); (1,0,7,0:vw2); (1,0,8,0:vw2); (1,0,9,0:vw2); (1,0,10,0:vw2); (1,0,11,0:vw2); (1,0,12,0:vw2); (1,0,13,0:vw2); (1,0,14,0:vw2); (1,0,15,0:vw2); (2,0,0,0:vw2); (2,0,1,0:vw2); (2,0,2,0:vw2); (2,0,3,0:vw2); (2,0,4,0:vw2); (2,0,5,0:vw2); (2,0,6,0:vw2); (2,0,7,0:vw2); (2,0,8,0:vw2); (2,0,9,0:vw2); (2,0,10,0:vw2); (2,0,11,0:vw2); (2,0,12,0:vw2); (2,0,13,0:vw2); (2,0,14,0:vw2); (2,0,15,0:vw2); (3,0,0,0:vw2); (3,0,1,0:vw2); (3,0,2,0:vw2); (3,0,3,0:vw2); (3,0,4,0:vw2); (3,0,5,0:vw2); (3,0,6,0:vw2); (3,0,7,0:vw2); (3,0,8,0:vw2); (3,0,9,0:vw2); (3,0,10,0:vw2); (3,0,11,0:vw2); (3,0,12,0:vw2); (3,0,13,0:vw2); (3,0,14,0:vw2); (3,0,15,0:vw2); (4,0,0,0:vw2); (4,0,1,0:vw2); (4,0,2,0:vw2); (4,0,3,0:vw2); (4,0,4,0:vw2); (4,0,5,0:vw2); (4,0,6,0:vw2); (4,0,7,0:vw2); (4,0,8,0:vw2); (4,0,9,0:vw2); (4,0,10,0:vw2); (4,0,11,0:vw2); (4,0,12,0:vw2); (4,0,13,0:vw2); (4,0,14,0:vw2) */
/******************************************/

/* calc coords, apply mask, and issue loads (if necessary) */
/* (d1,vc1,d0,vc0)=(0,0,0,0) */
_v_add_lshl_u32 v12, v2, v0, 0x0                   // optSingleColVgpr scaleToBpe: sharedAddrVgpr <- cinRowPtr + coord0, scaled by BPE. BSHERE:coord0=0, coord0Vgpr=0
_buffer_load_d16_b16 v13, v12, s[sgprSrdC:sgprSrdC+3], 0, offen offset:0 // load C for beta calc
/* (d1,vc1,d0,vc0)=(0,1,0,0) */
s_lshl_b32  s54, s[sgprStrideC1J], 0               // incToNextRow: Scale by BPE
s_add_u32  s[sgprSrdC+0], s[sgprSrdC+0], s54       // incToNextRow: gra SRD += inc(lower)
s_addc_u32  s[sgprSrdC+1], s[sgprSrdC+1], 0        // incToNextRow: gra SRD += inc(upper)
_buffer_load_d16_b16 v16, v12, s[sgprSrdC:sgprSrdC+3], 0, offen offset:0 // load C for beta calc
/* (d1,vc1,d0,vc0)=(0,2,0,0) */
s_lshl_b32  s54, s[sgprStrideC1J], 0               // incToNextRow: Scale by BPE
s_add_u32  s[sgprSrdC+0], s[sgprSrdC+0], s54       // incToNextRow: gra SRD += inc(lower)
s_addc_u32  s[sgprSrdC+1], s[sgprSrdC+1], 0        // incToNextRow: gra SRD += inc(upper)
	;; [unrolled: 5-line block ×15, first 2 shown]
_buffer_load_d16_b16 v58, v12, s[sgprSrdC:sgprSrdC+3], 0, offen offset:0 // load C for beta calc
/* (d1,vc1,d0,vc0)=(1,0,0,0) */
s_mul_i32 s54, s[sgprStrideC1J], 17                // scale StrideC *= numRows(17) * bpe
s_add_u32  s[sgprSrdC+0], s[sgprSrdC+0], s54       // incToNextRow: gra SRD += inc(lower)
s_addc_u32  s[sgprSrdC+1], s[sgprSrdC+1], 0        // incToNextRow: gra SRD += inc(upper)
_buffer_load_d16_b16 v59, v12, s[sgprSrdC:sgprSrdC+3], 0, offen offset:0 // load C for beta calc
/* (d1,vc1,d0,vc0)=(1,1,0,0) */
s_lshl_b32  s54, s[sgprStrideC1J], 0               // incToNextRow: Scale by BPE
s_add_u32  s[sgprSrdC+0], s[sgprSrdC+0], s54       // incToNextRow: gra SRD += inc(lower)
s_addc_u32  s[sgprSrdC+1], s[sgprSrdC+1], 0        // incToNextRow: gra SRD += inc(upper)
_buffer_load_d16_b16 v64, v12, s[sgprSrdC:sgprSrdC+3], 0, offen offset:0 // load C for beta calc
/* (d1,vc1,d0,vc0)=(1,2,0,0) */
s_lshl_b32  s54, s[sgprStrideC1J], 0               // incToNextRow: Scale by BPE
	;; [unrolled: 5-line block ×15, first 2 shown]
s_add_u32  s[sgprSrdC+0], s[sgprSrdC+0], s54       // incToNextRow: gra SRD += inc(lower)
s_addc_u32  s[sgprSrdC+1], s[sgprSrdC+1], 0        // incToNextRow: gra SRD += inc(upper)
_buffer_load_d16_b16 v106, v12, s[sgprSrdC:sgprSrdC+3], 0, offen offset:0 // load C for beta calc
/* (d1,vc1,d0,vc0)=(2,0,0,0) */
s_mul_i32 s54, s[sgprStrideC1J], 17                // scale StrideC *= numRows(17) * bpe
s_add_u32  s[sgprSrdC+0], s[sgprSrdC+0], s54       // incToNextRow: gra SRD += inc(lower)
s_addc_u32  s[sgprSrdC+1], s[sgprSrdC+1], 0        // incToNextRow: gra SRD += inc(upper)
_buffer_load_d16_b16 v107, v12, s[sgprSrdC:sgprSrdC+3], 0, offen offset:0 // load C for beta calc
/* (d1,vc1,d0,vc0)=(2,1,0,0) */
s_lshl_b32  s54, s[sgprStrideC1J], 0               // incToNextRow: Scale by BPE
s_add_u32  s[sgprSrdC+0], s[sgprSrdC+0], s54       // incToNextRow: gra SRD += inc(lower)
s_addc_u32  s[sgprSrdC+1], s[sgprSrdC+1], 0        // incToNextRow: gra SRD += inc(upper)
_buffer_load_d16_b16 v112, v12, s[sgprSrdC:sgprSrdC+3], 0, offen offset:0 // load C for beta calc
/* (d1,vc1,d0,vc0)=(2,2,0,0) */
s_lshl_b32  s54, s[sgprStrideC1J], 0               // incToNextRow: Scale by BPE
	;; [unrolled: 5-line block ×15, first 2 shown]
s_add_u32  s[sgprSrdC+0], s[sgprSrdC+0], s54       // incToNextRow: gra SRD += inc(lower)
s_addc_u32  s[sgprSrdC+1], s[sgprSrdC+1], 0        // incToNextRow: gra SRD += inc(upper)
_buffer_load_d16_b16 v155, v12, s[sgprSrdC:sgprSrdC+3], 0, offen offset:0 // load C for beta calc
/* (d1,vc1,d0,vc0)=(3,0,0,0) */
s_mul_i32 s54, s[sgprStrideC1J], 17                // scale StrideC *= numRows(17) * bpe
s_add_u32  s[sgprSrdC+0], s[sgprSrdC+0], s54       // incToNextRow: gra SRD += inc(lower)
s_addc_u32  s[sgprSrdC+1], s[sgprSrdC+1], 0        // incToNextRow: gra SRD += inc(upper)
_buffer_load_d16_b16 v160, v12, s[sgprSrdC:sgprSrdC+3], 0, offen offset:0 // load C for beta calc
/* (d1,vc1,d0,vc0)=(3,1,0,0) */
s_lshl_b32  s54, s[sgprStrideC1J], 0               // incToNextRow: Scale by BPE
s_add_u32  s[sgprSrdC+0], s[sgprSrdC+0], s54       // incToNextRow: gra SRD += inc(lower)
s_addc_u32  s[sgprSrdC+1], s[sgprSrdC+1], 0        // incToNextRow: gra SRD += inc(upper)
_buffer_load_d16_b16 v161, v12, s[sgprSrdC:sgprSrdC+3], 0, offen offset:0 // load C for beta calc
/* (d1,vc1,d0,vc0)=(3,2,0,0) */
s_lshl_b32  s54, s[sgprStrideC1J], 0               // incToNextRow: Scale by BPE
	;; [unrolled: 5-line block ×15, first 2 shown]
s_add_u32  s[sgprSrdC+0], s[sgprSrdC+0], s54       // incToNextRow: gra SRD += inc(lower)
s_addc_u32  s[sgprSrdC+1], s[sgprSrdC+1], 0        // incToNextRow: gra SRD += inc(upper)
_buffer_load_d16_b16 v203, v12, s[sgprSrdC:sgprSrdC+3], 0, offen offset:0 // load C for beta calc
/* (d1,vc1,d0,vc0)=(4,0,0,0) */
s_mul_i32 s54, s[sgprStrideC1J], 17                // scale StrideC *= numRows(17) * bpe
s_add_u32  s[sgprSrdC+0], s[sgprSrdC+0], s54       // incToNextRow: gra SRD += inc(lower)
s_addc_u32  s[sgprSrdC+1], s[sgprSrdC+1], 0        // incToNextRow: gra SRD += inc(upper)
_buffer_load_d16_b16 v208, v12, s[sgprSrdC:sgprSrdC+3], 0, offen offset:0 // load C for beta calc
/* (d1,vc1,d0,vc0)=(4,1,0,0) */
s_lshl_b32  s54, s[sgprStrideC1J], 0               // incToNextRow: Scale by BPE
s_add_u32  s[sgprSrdC+0], s[sgprSrdC+0], s54       // incToNextRow: gra SRD += inc(lower)
s_addc_u32  s[sgprSrdC+1], s[sgprSrdC+1], 0        // incToNextRow: gra SRD += inc(upper)
_buffer_load_d16_b16 v209, v12, s[sgprSrdC:sgprSrdC+3], 0, offen offset:0 // load C for beta calc
/* (d1,vc1,d0,vc0)=(4,2,0,0) */
s_lshl_b32  s54, s[sgprStrideC1J], 0               // incToNextRow: Scale by BPE
	;; [unrolled: 5-line block ×14, first 2 shown]
s_add_u32  s[sgprSrdC+0], s[sgprSrdC+0], s54       // incToNextRow: gra SRD += inc(lower)
s_addc_u32  s[sgprSrdC+1], s[sgprSrdC+1], 0        // incToNextRow: gra SRD += inc(upper)
_buffer_load_d16_b16 v250, v12, s[sgprSrdC:sgprSrdC+3], 0, offen offset:0 // load C for beta calc
_v_add_lshl_u32 v11, v3, v0, 0x0                   // optSingleColVgpr scaleToBpe: sharedAddrVgpr <- cinRowPtr + coord0, scaled by BPE. BSHERE:coord0=0, coord0Vgpr=0
v_accvgpr_read_b32 v[vgprValuC+14], acc0 // copy acc to vreg[0]
v_accvgpr_read_b32 v[vgprValuC+15], acc16 // copy acc to vreg[1]
v_accvgpr_read_b32 v[vgprValuC+18], acc32 // copy acc to vreg[2]
v_accvgpr_read_b32 v[vgprValuC+19], acc48 // copy acc to vreg[3]
v_accvgpr_read_b32 v[vgprValuC+20], acc64 // copy acc to vreg[4]
v_accvgpr_read_b32 v[vgprValuC+21], acc80 // copy acc to vreg[5]
v_accvgpr_read_b32 v[vgprValuC+24], acc96 // copy acc to vreg[6]
v_accvgpr_read_b32 v[vgprValuC+25], acc112 // copy acc to vreg[7]
v_accvgpr_read_b32 v[vgprValuC+26], acc1 // copy acc to vreg[8]
v_accvgpr_read_b32 v[vgprValuC+27], acc17 // copy acc to vreg[9]
v_accvgpr_read_b32 v[vgprValuC+30], acc33 // copy acc to vreg[10]
v_accvgpr_read_b32 v[vgprValuC+31], acc49 // copy acc to vreg[11]
v_accvgpr_read_b32 v[vgprValuC+32], acc65 // copy acc to vreg[12]
v_accvgpr_read_b32 v[vgprValuC+33], acc81 // copy acc to vreg[13]
v_accvgpr_read_b32 v[vgprValuC+36], acc97 // copy acc to vreg[14]
v_accvgpr_read_b32 v[vgprValuC+37], acc113 // copy acc to vreg[15]
v_accvgpr_read_b32 v[vgprValuC+38], acc2 // copy acc to vreg[16]
v_accvgpr_read_b32 v[vgprValuC+39], acc18 // copy acc to vreg[17]
v_accvgpr_read_b32 v[vgprValuC+42], acc34 // copy acc to vreg[18]
v_accvgpr_read_b32 v[vgprValuC+43], acc50 // copy acc to vreg[19]
v_accvgpr_read_b32 v[vgprValuC+44], acc66 // copy acc to vreg[20]
v_accvgpr_read_b32 v[vgprValuC+45], acc82 // copy acc to vreg[21]
v_accvgpr_read_b32 v[vgprValuC+48], acc98 // copy acc to vreg[22]
v_accvgpr_read_b32 v[vgprValuC+49], acc114 // copy acc to vreg[23]
v_accvgpr_read_b32 v[vgprValuC+50], acc3 // copy acc to vreg[24]
v_accvgpr_read_b32 v[vgprValuC+51], acc19 // copy acc to vreg[25]
v_accvgpr_read_b32 v[vgprValuC+54], acc35 // copy acc to vreg[26]
v_accvgpr_read_b32 v[vgprValuC+55], acc51 // copy acc to vreg[27]
v_accvgpr_read_b32 v[vgprValuC+56], acc67 // copy acc to vreg[28]
v_accvgpr_read_b32 v[vgprValuC+57], acc83 // copy acc to vreg[29]
v_accvgpr_read_b32 v[vgprValuC+60], acc99 // copy acc to vreg[30]
v_accvgpr_read_b32 v[vgprValuC+61], acc115 // copy acc to vreg[31]
v_accvgpr_read_b32 v[vgprValuC+62], acc4 // copy acc to vreg[32]
v_accvgpr_read_b32 v[vgprValuC+63], acc20 // copy acc to vreg[33]
v_accvgpr_read_b32 v[vgprValuC+66], acc36 // copy acc to vreg[34]
v_accvgpr_read_b32 v[vgprValuC+67], acc52 // copy acc to vreg[35]
v_accvgpr_read_b32 v[vgprValuC+68], acc68 // copy acc to vreg[36]
v_accvgpr_read_b32 v[vgprValuC+69], acc84 // copy acc to vreg[37]
v_accvgpr_read_b32 v[vgprValuC+72], acc100 // copy acc to vreg[38]
v_accvgpr_read_b32 v[vgprValuC+73], acc116 // copy acc to vreg[39]
v_accvgpr_read_b32 v[vgprValuC+74], acc5 // copy acc to vreg[40]
v_accvgpr_read_b32 v[vgprValuC+75], acc21 // copy acc to vreg[41]
v_accvgpr_read_b32 v[vgprValuC+78], acc37 // copy acc to vreg[42]
v_accvgpr_read_b32 v[vgprValuC+79], acc53 // copy acc to vreg[43]
v_accvgpr_read_b32 v[vgprValuC+80], acc69 // copy acc to vreg[44]
v_accvgpr_read_b32 v[vgprValuC+81], acc85 // copy acc to vreg[45]
v_accvgpr_read_b32 v[vgprValuC+84], acc101 // copy acc to vreg[46]
v_accvgpr_read_b32 v[vgprValuC+85], acc117 // copy acc to vreg[47]
v_accvgpr_read_b32 v[vgprValuC+86], acc6 // copy acc to vreg[48]
v_accvgpr_read_b32 v[vgprValuC+87], acc22 // copy acc to vreg[49]
v_accvgpr_read_b32 v[vgprValuC+90], acc38 // copy acc to vreg[50]
v_accvgpr_read_b32 v[vgprValuC+91], acc54 // copy acc to vreg[51]
v_accvgpr_read_b32 v[vgprValuC+92], acc70 // copy acc to vreg[52]
v_accvgpr_read_b32 v[vgprValuC+93], acc86 // copy acc to vreg[53]
v_accvgpr_read_b32 v[vgprValuC+96], acc102 // copy acc to vreg[54]
v_accvgpr_read_b32 v[vgprValuC+97], acc118 // copy acc to vreg[55]
v_accvgpr_read_b32 v[vgprValuC+98], acc7 // copy acc to vreg[56]
v_accvgpr_read_b32 v[vgprValuC+99], acc23 // copy acc to vreg[57]
v_accvgpr_read_b32 v[vgprValuC+102], acc39 // copy acc to vreg[58]
v_accvgpr_read_b32 v[vgprValuC+103], acc55 // copy acc to vreg[59]
v_accvgpr_read_b32 v[vgprValuC+104], acc71 // copy acc to vreg[60]
v_accvgpr_read_b32 v[vgprValuC+105], acc87 // copy acc to vreg[61]
v_accvgpr_read_b32 v[vgprValuC+108], acc103 // copy acc to vreg[62]
v_accvgpr_read_b32 v[vgprValuC+109], acc119 // copy acc to vreg[63]
v_accvgpr_read_b32 v[vgprValuC+110], acc8 // copy acc to vreg[64]
v_accvgpr_read_b32 v[vgprValuC+111], acc24 // copy acc to vreg[65]
v_accvgpr_read_b32 v[vgprValuC+114], acc40 // copy acc to vreg[66]
v_accvgpr_read_b32 v[vgprValuC+115], acc56 // copy acc to vreg[67]
v_accvgpr_read_b32 v[vgprValuC+120], acc72 // copy acc to vreg[68]
v_accvgpr_read_b32 v[vgprValuC+121], acc88 // copy acc to vreg[69]
v_accvgpr_read_b32 v[vgprValuC+122], acc104 // copy acc to vreg[70]
v_accvgpr_read_b32 v[vgprValuC+123], acc120 // copy acc to vreg[71]
v_accvgpr_read_b32 v[vgprValuC+126], acc9 // copy acc to vreg[72]
v_accvgpr_read_b32 v[vgprValuC+127], acc25 // copy acc to vreg[73]
v_accvgpr_read_b32 v[vgprValuC+128], acc41 // copy acc to vreg[74]
v_accvgpr_read_b32 v[vgprValuC+129], acc57 // copy acc to vreg[75]
v_accvgpr_read_b32 v[vgprValuC+132], acc73 // copy acc to vreg[76]
v_accvgpr_read_b32 v[vgprValuC+133], acc89 // copy acc to vreg[77]
v_accvgpr_read_b32 v[vgprValuC+134], acc105 // copy acc to vreg[78]
v_accvgpr_read_b32 v[vgprValuC+135], acc121 // copy acc to vreg[79]
v_accvgpr_read_b32 v[vgprValuC+138], acc10 // copy acc to vreg[80]
v_accvgpr_read_b32 v[vgprValuC+139], acc26 // copy acc to vreg[81]
v_accvgpr_read_b32 v[vgprValuC+140], acc42 // copy acc to vreg[82]
v_accvgpr_read_b32 v[vgprValuC+141], acc58 // copy acc to vreg[83]
v_accvgpr_read_b32 v[vgprValuC+144], acc74 // copy acc to vreg[84]
v_accvgpr_read_b32 v[vgprValuC+145], acc90 // copy acc to vreg[85]
v_accvgpr_read_b32 v[vgprValuC+146], acc106 // copy acc to vreg[86]
v_accvgpr_read_b32 v[vgprValuC+147], acc122 // copy acc to vreg[87]
v_accvgpr_read_b32 v[vgprValuC+150], acc11 // copy acc to vreg[88]
v_accvgpr_read_b32 v[vgprValuC+151], acc27 // copy acc to vreg[89]
v_accvgpr_read_b32 v[vgprValuC+152], acc43 // copy acc to vreg[90]
v_accvgpr_read_b32 v[vgprValuC+153], acc59 // copy acc to vreg[91]
v_accvgpr_read_b32 v[vgprValuC+156], acc75 // copy acc to vreg[92]
v_accvgpr_read_b32 v[vgprValuC+157], acc91 // copy acc to vreg[93]
v_accvgpr_read_b32 v[vgprValuC+158], acc107 // copy acc to vreg[94]
v_accvgpr_read_b32 v[vgprValuC+159], acc123 // copy acc to vreg[95]
v_accvgpr_read_b32 v[vgprValuC+162], acc12 // copy acc to vreg[96]
v_accvgpr_read_b32 v[vgprValuC+163], acc28 // copy acc to vreg[97]
v_accvgpr_read_b32 v[vgprValuC+164], acc44 // copy acc to vreg[98]
v_accvgpr_read_b32 v[vgprValuC+165], acc60 // copy acc to vreg[99]
v_accvgpr_read_b32 v[vgprValuC+168], acc76 // copy acc to vreg[100]
v_accvgpr_read_b32 v[vgprValuC+169], acc92 // copy acc to vreg[101]
v_accvgpr_read_b32 v[vgprValuC+170], acc108 // copy acc to vreg[102]
v_accvgpr_read_b32 v[vgprValuC+171], acc124 // copy acc to vreg[103]
v_accvgpr_read_b32 v[vgprValuC+174], acc13 // copy acc to vreg[104]
v_accvgpr_read_b32 v[vgprValuC+175], acc29 // copy acc to vreg[105]
v_accvgpr_read_b32 v[vgprValuC+176], acc45 // copy acc to vreg[106]
v_accvgpr_read_b32 v[vgprValuC+177], acc61 // copy acc to vreg[107]
v_accvgpr_read_b32 v[vgprValuC+180], acc77 // copy acc to vreg[108]
v_accvgpr_read_b32 v[vgprValuC+181], acc93 // copy acc to vreg[109]
v_accvgpr_read_b32 v[vgprValuC+182], acc109 // copy acc to vreg[110]
v_accvgpr_read_b32 v[vgprValuC+183], acc125 // copy acc to vreg[111]
v_accvgpr_read_b32 v[vgprValuC+186], acc14 // copy acc to vreg[112]
v_accvgpr_read_b32 v[vgprValuC+187], acc30 // copy acc to vreg[113]
v_accvgpr_read_b32 v[vgprValuC+188], acc46 // copy acc to vreg[114]
v_accvgpr_read_b32 v[vgprValuC+189], acc62 // copy acc to vreg[115]
v_accvgpr_read_b32 v[vgprValuC+192], acc78 // copy acc to vreg[116]
v_accvgpr_read_b32 v[vgprValuC+193], acc94 // copy acc to vreg[117]
v_accvgpr_read_b32 v[vgprValuC+194], acc110 // copy acc to vreg[118]
v_accvgpr_read_b32 v[vgprValuC+195], acc126 // copy acc to vreg[119]
v_accvgpr_read_b32 v[vgprValuC+198], acc15 // copy acc to vreg[120]
v_accvgpr_read_b32 v[vgprValuC+199], acc31 // copy acc to vreg[121]
v_accvgpr_read_b32 v[vgprValuC+200], acc47 // copy acc to vreg[122]
v_accvgpr_read_b32 v[vgprValuC+201], acc63 // copy acc to vreg[123]
v_accvgpr_read_b32 v[vgprValuC+204], acc79 // copy acc to vreg[124]
v_accvgpr_read_b32 v[vgprValuC+205], acc95 // copy acc to vreg[125]
v_accvgpr_read_b32 v[vgprValuC+206], acc111 // copy acc to vreg[126]
v_accvgpr_read_b32 v[vgprValuC+207], acc127 // copy acc to vreg[127]
v_accvgpr_read_b32 v[vgprValuC+210], acc128 // copy acc to vreg[128]
v_accvgpr_read_b32 v[vgprValuC+211], acc144 // copy acc to vreg[129]
v_accvgpr_read_b32 v[vgprValuC+212], acc160 // copy acc to vreg[130]
v_accvgpr_read_b32 v[vgprValuC+213], acc176 // copy acc to vreg[131]
v_accvgpr_read_b32 v[vgprValuC+216], acc192 // copy acc to vreg[132]
v_accvgpr_read_b32 v[vgprValuC+217], acc208 // copy acc to vreg[133]
v_accvgpr_read_b32 v[vgprValuC+218], acc224 // copy acc to vreg[134]
v_accvgpr_read_b32 v[vgprValuC+219], acc240 // copy acc to vreg[135]
v_accvgpr_read_b32 v[vgprValuC+222], acc129 // copy acc to vreg[136]
v_accvgpr_read_b32 v[vgprValuC+223], acc145 // copy acc to vreg[137]
v_accvgpr_read_b32 v[vgprValuC+224], acc161 // copy acc to vreg[138]
v_accvgpr_read_b32 v[vgprValuC+225], acc177 // copy acc to vreg[139]
v_accvgpr_read_b32 v[vgprValuC+228], acc193 // copy acc to vreg[140]
v_accvgpr_read_b32 v[vgprValuC+229], acc209 // copy acc to vreg[141]
v_accvgpr_read_b32 v[vgprValuC+230], acc225 // copy acc to vreg[142]
v_accvgpr_read_b32 v[vgprValuC+231], acc241 // copy acc to vreg[143]
v_accvgpr_read_b32 v[vgprValuC+234], acc130 // copy acc to vreg[144]
v_accvgpr_read_b32 v[vgprValuC+235], acc146 // copy acc to vreg[145]
v_accvgpr_read_b32 v[vgprValuC+236], acc162 // copy acc to vreg[146]
v_accvgpr_read_b32 v[vgprValuC+237], acc178 // copy acc to vreg[147]
v_accvgpr_read_b32 v[vgprValuC+240], acc194 // copy acc to vreg[148]
v_accvgpr_read_b32 v[vgprValuC+241], acc210 // copy acc to vreg[149]
v_accvgpr_read_b32 v[vgprValuC+242], acc226 // copy acc to vreg[150]
v_accvgpr_read_b32 v[vgprValuC+243], acc242 // copy acc to vreg[151]
v_accvgpr_read_b32 v[vgprValuC+246], acc131 // copy acc to vreg[152]
v_accvgpr_read_b32 v[vgprValuC+247], acc147 // copy acc to vreg[153]
v_accvgpr_read_b32 v[vgprValuC+248], acc163 // copy acc to vreg[154]
v_accvgpr_read_b32 v[vgprValuC+249], acc179 // copy acc to vreg[155]
v_accvgpr_read_b32 v[vgprValuC+252], acc195 // copy acc to vreg[156]
v_accvgpr_read_b32 v[vgprValuC+253], acc211 // copy acc to vreg[157]
s_nop 1                                            // 2 wait states required before reading vgpr

/* rC *= alpha batchElements=[(0, 0, 0, 0), (0, 0, 1, 0), (0, 0, 2, 0), (0, 0, 3, 0), (0, 0, 4, 0), (0, 0, 5, 0), (0, 0, 6, 0), (0, 0, 7, 0), (0, 0, 8, 0), (0, 0, 9, 0), (0, 0, 10, 0), (0, 0, 11, 0), (0, 0, 12, 0), (0, 0, 13, 0), (0, 0, 14, 0), (0, 0, 15, 0), (1, 0, 0, 0), (1, 0, 1, 0), (1, 0, 2, 0), (1, 0, 3, 0), (1, 0, 4, 0), (1, 0, 5, 0), (1, 0, 6, 0), (1, 0, 7, 0), (1, 0, 8, 0), (1, 0, 9, 0), (1, 0, 10, 0), (1, 0, 11, 0), (1, 0, 12, 0), (1, 0, 13, 0), (1, 0, 14, 0), (1, 0, 15, 0), (2, 0, 0, 0), (2, 0, 1, 0), (2, 0, 2, 0), (2, 0, 3, 0), (2, 0, 4, 0), (2, 0, 5, 0), (2, 0, 6, 0), (2, 0, 7, 0), (2, 0, 8, 0), (2, 0, 9, 0), (2, 0, 10, 0), (2, 0, 11, 0), (2, 0, 12, 0), (2, 0, 13, 0), (2, 0, 14, 0), (2, 0, 15, 0), (3, 0, 0, 0), (3, 0, 1, 0), (3, 0, 2, 0), (3, 0, 3, 0), (3, 0, 4, 0), (3, 0, 5, 0), (3, 0, 6, 0), (3, 0, 7, 0), (3, 0, 8, 0), (3, 0, 9, 0), (3, 0, 10, 0), (3, 0, 11, 0), (3, 0, 12, 0), (3, 0, 13, 0), (3, 0, 14, 0), (3, 0, 15, 0), (4, 0, 0, 0), (4, 0, 1, 0), (4, 0, 2, 0), (4, 0, 3, 0), (4, 0, 4, 0), (4, 0, 5, 0), (4, 0, 6, 0), (4, 0, 7, 0), (4, 0, 8, 0), (4, 0, 9, 0), (4, 0, 10, 0), (4, 0, 11, 0), (4, 0, 12, 0), (4, 0, 13, 0), (4, 0, 14, 0)] */
v_mul_f32 v[vgprValuC+14], s[sgprAlpha], v[vgprValuC+14] // *= alpha
v_mul_f32 v[vgprValuC+15], s[sgprAlpha], v[vgprValuC+15] // *= alpha
	;; [unrolled: 1-line block ×158, first 2 shown]

/* apply mask, calc new C and issue writes */
v_mov_b32 v10, 0x207                               // flag for Nan and +/- inf
v_mov_b32 v8, 0x43700000                           // save 240.0f as max for clipping
v_mov_b32 v9, 0xC3700000                           // save -240.0f as min for clipping

s_waitcnt vmcnt(63)                                // wait C (interleaved) 78 = 79 - 0 + 0 - 1
V_cvt_pk_f32_fp8 v[6:7], v13    // convert two f8 in lo_16 to f32
_v_mac_f32 v[vgprValuC+14], v6, s[sgprBeta]        // finalSum = sum*alpha + C*beta
_v_mac_f32 v[vgprValuC+15], v7, s[sgprBeta]        // finalSum = sum*alpha + C*beta
v_cmp_class_f32 s[54:55], v[vgprValuC+14], v10     // check NaN and +/-INF
v_med3_f32 v6, v[vgprValuC+14], v8, v9             // Clipping f32 value if exceeds the limit
v_cndmask_b32 v6, v6, v[vgprValuC+14], s[54:55]    // 
v_cmp_class_f32 s[54:55], v[vgprValuC+15], v10     // check NaN and +/-INF
v_med3_f32 v7, v[vgprValuC+15], v8, v9             // Clipping f32 value if exceeds the limit
v_cndmask_b32 v7, v7, v[vgprValuC+15], s[54:55]    // 
v_cvt_pk_fp8_f32  v14, v6, v7 op_sel:[0,0,0]       // convert two f32 accumulated values to fp8 and save it to lo_16[0:15]
_buffer_store_b16 v14, v11, s[sgprSrdD:sgprSrdD+3], 0, offen, offset:0 // store D

s_waitcnt vmcnt(63)                                // wait C (interleaved) 78 = 79 - 1 + 1 - 1
V_cvt_pk_f32_fp8 v[6:7], v16    // convert two f8 in lo_16 to f32
_v_mac_f32 v[vgprValuC+18], v6, s[sgprBeta]        // finalSum = sum*alpha + C*beta
_v_mac_f32 v[vgprValuC+19], v7, s[sgprBeta]        // finalSum = sum*alpha + C*beta
v_cmp_class_f32 s[54:55], v[vgprValuC+18], v10     // check NaN and +/-INF
v_med3_f32 v6, v[vgprValuC+18], v8, v9             // Clipping f32 value if exceeds the limit
v_cndmask_b32 v6, v6, v[vgprValuC+18], s[54:55]    // 
v_cmp_class_f32 s[54:55], v[vgprValuC+19], v10     // check NaN and +/-INF
v_med3_f32 v7, v[vgprValuC+19], v8, v9             // Clipping f32 value if exceeds the limit
v_cndmask_b32 v7, v7, v[vgprValuC+19], s[54:55]    // 
v_cvt_pk_fp8_f32  v18, v6, v7 op_sel:[0,0,0]       // convert two f32 accumulated values to fp8 and save it to lo_16[0:15]
s_lshl_b32  s54, s[sgprStrideD1J], 0               // incToNextRow: Scale by BPE
s_add_u32  s[sgprSrdD+0], s[sgprSrdD+0], s54       // incToNextRow: gra SRD += inc(lower)
s_addc_u32  s[sgprSrdD+1], s[sgprSrdD+1], 0        // incToNextRow: gra SRD += inc(upper)
_buffer_store_b16 v18, v11, s[sgprSrdD:sgprSrdD+3], 0, offen, offset:0 // store D

s_waitcnt vmcnt(63)                                // wait C (interleaved) 78 = 79 - 2 + 2 - 1
V_cvt_pk_f32_fp8 v[6:7], v17    // convert two f8 in lo_16 to f32
_v_mac_f32 v[vgprValuC+20], v6, s[sgprBeta]        // finalSum = sum*alpha + C*beta
_v_mac_f32 v[vgprValuC+21], v7, s[sgprBeta]        // finalSum = sum*alpha + C*beta
v_cmp_class_f32 s[54:55], v[vgprValuC+20], v10     // check NaN and +/-INF
v_med3_f32 v6, v[vgprValuC+20], v8, v9             // Clipping f32 value if exceeds the limit
v_cndmask_b32 v6, v6, v[vgprValuC+20], s[54:55]    // 
v_cmp_class_f32 s[54:55], v[vgprValuC+21], v10     // check NaN and +/-INF
v_med3_f32 v7, v[vgprValuC+21], v8, v9             // Clipping f32 value if exceeds the limit
v_cndmask_b32 v7, v7, v[vgprValuC+21], s[54:55]    // 
v_cvt_pk_fp8_f32  v20, v6, v7 op_sel:[0,0,0]       // convert two f32 accumulated values to fp8 and save it to lo_16[0:15]
s_lshl_b32  s54, s[sgprStrideD1J], 0               // incToNextRow: Scale by BPE
s_add_u32  s[sgprSrdD+0], s[sgprSrdD+0], s54       // incToNextRow: gra SRD += inc(lower)
s_addc_u32  s[sgprSrdD+1], s[sgprSrdD+1], 0        // incToNextRow: gra SRD += inc(upper)
	;; [unrolled: 16-line block ×15, first 2 shown]
_buffer_store_b16 v60, v11, s[sgprSrdD:sgprSrdD+3], 0, offen, offset:0 // store D

s_waitcnt vmcnt(63)                                // wait C (interleaved) 78 = 79 - 16 + 16 - 1
V_cvt_pk_f32_fp8 v[6:7], v59    // convert two f8 in lo_16 to f32
_v_mac_f32 v[vgprValuC+62], v6, s[sgprBeta]        // finalSum = sum*alpha + C*beta
_v_mac_f32 v[vgprValuC+63], v7, s[sgprBeta]        // finalSum = sum*alpha + C*beta
v_cmp_class_f32 s[54:55], v[vgprValuC+62], v10     // check NaN and +/-INF
v_med3_f32 v6, v[vgprValuC+62], v8, v9             // Clipping f32 value if exceeds the limit
v_cndmask_b32 v6, v6, v[vgprValuC+62], s[54:55]    // 
v_cmp_class_f32 s[54:55], v[vgprValuC+63], v10     // check NaN and +/-INF
v_med3_f32 v7, v[vgprValuC+63], v8, v9             // Clipping f32 value if exceeds the limit
v_cndmask_b32 v7, v7, v[vgprValuC+63], s[54:55]    // 
v_cvt_pk_fp8_f32  v62, v6, v7 op_sel:[0,0,0]       // convert two f32 accumulated values to fp8 and save it to lo_16[0:15]
s_mul_i32 s54, s[sgprStrideD1J], 17                // scale StrideD *= numRows(17) * bpe
s_add_u32  s[sgprSrdD+0], s[sgprSrdD+0], s54       // incToNextRow: gra SRD += inc(lower)
s_addc_u32  s[sgprSrdD+1], s[sgprSrdD+1], 0        // incToNextRow: gra SRD += inc(upper)
_buffer_store_b16 v62, v11, s[sgprSrdD:sgprSrdD+3], 0, offen, offset:0 // store D

s_waitcnt vmcnt(63)                                // wait C (interleaved) 78 = 79 - 17 + 17 - 1
V_cvt_pk_f32_fp8 v[6:7], v64    // convert two f8 in lo_16 to f32
_v_mac_f32 v[vgprValuC+66], v6, s[sgprBeta]        // finalSum = sum*alpha + C*beta
_v_mac_f32 v[vgprValuC+67], v7, s[sgprBeta]        // finalSum = sum*alpha + C*beta
v_cmp_class_f32 s[54:55], v[vgprValuC+66], v10     // check NaN and +/-INF
v_med3_f32 v6, v[vgprValuC+66], v8, v9             // Clipping f32 value if exceeds the limit
v_cndmask_b32 v6, v6, v[vgprValuC+66], s[54:55]    // 
v_cmp_class_f32 s[54:55], v[vgprValuC+67], v10     // check NaN and +/-INF
v_med3_f32 v7, v[vgprValuC+67], v8, v9             // Clipping f32 value if exceeds the limit
v_cndmask_b32 v7, v7, v[vgprValuC+67], s[54:55]    // 
v_cvt_pk_fp8_f32  v66, v6, v7 op_sel:[0,0,0]       // convert two f32 accumulated values to fp8 and save it to lo_16[0:15]
s_lshl_b32  s54, s[sgprStrideD1J], 0               // incToNextRow: Scale by BPE
s_add_u32  s[sgprSrdD+0], s[sgprSrdD+0], s54       // incToNextRow: gra SRD += inc(lower)
s_addc_u32  s[sgprSrdD+1], s[sgprSrdD+1], 0        // incToNextRow: gra SRD += inc(upper)
_buffer_store_b16 v66, v11, s[sgprSrdD:sgprSrdD+3], 0, offen, offset:0 // store D

s_waitcnt vmcnt(63)                                // wait C (interleaved) 78 = 79 - 18 + 18 - 1
V_cvt_pk_f32_fp8 v[6:7], v65    // convert two f8 in lo_16 to f32
_v_mac_f32 v[vgprValuC+68], v6, s[sgprBeta]        // finalSum = sum*alpha + C*beta
_v_mac_f32 v[vgprValuC+69], v7, s[sgprBeta]        // finalSum = sum*alpha + C*beta
v_cmp_class_f32 s[54:55], v[vgprValuC+68], v10     // check NaN and +/-INF
v_med3_f32 v6, v[vgprValuC+68], v8, v9             // Clipping f32 value if exceeds the limit
v_cndmask_b32 v6, v6, v[vgprValuC+68], s[54:55]    // 
v_cmp_class_f32 s[54:55], v[vgprValuC+69], v10     // check NaN and +/-INF
v_med3_f32 v7, v[vgprValuC+69], v8, v9             // Clipping f32 value if exceeds the limit
v_cndmask_b32 v7, v7, v[vgprValuC+69], s[54:55]    // 
v_cvt_pk_fp8_f32  v68, v6, v7 op_sel:[0,0,0]       // convert two f32 accumulated values to fp8 and save it to lo_16[0:15]
s_lshl_b32  s54, s[sgprStrideD1J], 0               // incToNextRow: Scale by BPE
	;; [unrolled: 16-line block ×12, first 2 shown]
s_add_u32  s[sgprSrdD+0], s[sgprSrdD+0], s54       // incToNextRow: gra SRD += inc(lower)
s_addc_u32  s[sgprSrdD+1], s[sgprSrdD+1], 0        // incToNextRow: gra SRD += inc(upper)
_buffer_store_b16 v98, v11, s[sgprSrdD:sgprSrdD+3], 0, offen, offset:0 // store D

s_waitcnt vmcnt(63)                                // wait C (interleaved) 78 = 79 - 29 + 29 - 1
V_cvt_pk_f32_fp8 v[6:7], v100    // convert two f8 in lo_16 to f32
_v_mac_f32 v[vgprValuC+102], v6, s[sgprBeta]       // finalSum = sum*alpha + C*beta
_v_mac_f32 v[vgprValuC+103], v7, s[sgprBeta]       // finalSum = sum*alpha + C*beta
v_cmp_class_f32 s[54:55], v[vgprValuC+102], v10    // check NaN and +/-INF
v_med3_f32 v6, v[vgprValuC+102], v8, v9            // Clipping f32 value if exceeds the limit
v_cndmask_b32 v6, v6, v[vgprValuC+102], s[54:55]   // 
v_cmp_class_f32 s[54:55], v[vgprValuC+103], v10    // check NaN and +/-INF
v_med3_f32 v7, v[vgprValuC+103], v8, v9            // Clipping f32 value if exceeds the limit
v_cndmask_b32 v7, v7, v[vgprValuC+103], s[54:55]   // 
v_cvt_pk_fp8_f32  v102, v6, v7 op_sel:[0,0,0]      // convert two f32 accumulated values to fp8 and save it to lo_16[0:15]
s_lshl_b32  s54, s[sgprStrideD1J], 0               // incToNextRow: Scale by BPE
s_add_u32  s[sgprSrdD+0], s[sgprSrdD+0], s54       // incToNextRow: gra SRD += inc(lower)
s_addc_u32  s[sgprSrdD+1], s[sgprSrdD+1], 0        // incToNextRow: gra SRD += inc(upper)
_buffer_store_b16 v102, v11, s[sgprSrdD:sgprSrdD+3], 0, offen, offset:0 // store D

s_waitcnt vmcnt(63)                                // wait C (interleaved) 78 = 79 - 30 + 30 - 1
V_cvt_pk_f32_fp8 v[6:7], v101    // convert two f8 in lo_16 to f32
_v_mac_f32 v[vgprValuC+104], v6, s[sgprBeta]       // finalSum = sum*alpha + C*beta
_v_mac_f32 v[vgprValuC+105], v7, s[sgprBeta]       // finalSum = sum*alpha + C*beta
v_cmp_class_f32 s[54:55], v[vgprValuC+104], v10    // check NaN and +/-INF
v_med3_f32 v6, v[vgprValuC+104], v8, v9            // Clipping f32 value if exceeds the limit
v_cndmask_b32 v6, v6, v[vgprValuC+104], s[54:55]   // 
v_cmp_class_f32 s[54:55], v[vgprValuC+105], v10    // check NaN and +/-INF
v_med3_f32 v7, v[vgprValuC+105], v8, v9            // Clipping f32 value if exceeds the limit
v_cndmask_b32 v7, v7, v[vgprValuC+105], s[54:55]   // 
v_cvt_pk_fp8_f32  v104, v6, v7 op_sel:[0,0,0]      // convert two f32 accumulated values to fp8 and save it to lo_16[0:15]
s_lshl_b32  s54, s[sgprStrideD1J], 0               // incToNextRow: Scale by BPE
	;; [unrolled: 16-line block ×3, first 2 shown]
s_add_u32  s[sgprSrdD+0], s[sgprSrdD+0], s54       // incToNextRow: gra SRD += inc(lower)
s_addc_u32  s[sgprSrdD+1], s[sgprSrdD+1], 0        // incToNextRow: gra SRD += inc(upper)
_buffer_store_b16 v108, v11, s[sgprSrdD:sgprSrdD+3], 0, offen, offset:0 // store D

s_waitcnt vmcnt(63)                                // wait C (interleaved) 78 = 79 - 32 + 32 - 1
V_cvt_pk_f32_fp8 v[6:7], v107    // convert two f8 in lo_16 to f32
_v_mac_f32 v[vgprValuC+110], v6, s[sgprBeta]       // finalSum = sum*alpha + C*beta
_v_mac_f32 v[vgprValuC+111], v7, s[sgprBeta]       // finalSum = sum*alpha + C*beta
v_cmp_class_f32 s[54:55], v[vgprValuC+110], v10    // check NaN and +/-INF
v_med3_f32 v6, v[vgprValuC+110], v8, v9            // Clipping f32 value if exceeds the limit
v_cndmask_b32 v6, v6, v[vgprValuC+110], s[54:55]   // 
v_cmp_class_f32 s[54:55], v[vgprValuC+111], v10    // check NaN and +/-INF
v_med3_f32 v7, v[vgprValuC+111], v8, v9            // Clipping f32 value if exceeds the limit
v_cndmask_b32 v7, v7, v[vgprValuC+111], s[54:55]   // 
v_cvt_pk_fp8_f32  v110, v6, v7 op_sel:[0,0,0]      // convert two f32 accumulated values to fp8 and save it to lo_16[0:15]
s_mul_i32 s54, s[sgprStrideD1J], 17                // scale StrideD *= numRows(17) * bpe
s_add_u32  s[sgprSrdD+0], s[sgprSrdD+0], s54       // incToNextRow: gra SRD += inc(lower)
s_addc_u32  s[sgprSrdD+1], s[sgprSrdD+1], 0        // incToNextRow: gra SRD += inc(upper)
_buffer_store_b16 v110, v11, s[sgprSrdD:sgprSrdD+3], 0, offen, offset:0 // store D

s_waitcnt vmcnt(63)                                // wait C (interleaved) 78 = 79 - 33 + 33 - 1
V_cvt_pk_f32_fp8 v[6:7], v112    // convert two f8 in lo_16 to f32
_v_mac_f32 v[vgprValuC+114], v6, s[sgprBeta]       // finalSum = sum*alpha + C*beta
_v_mac_f32 v[vgprValuC+115], v7, s[sgprBeta]       // finalSum = sum*alpha + C*beta
v_cmp_class_f32 s[54:55], v[vgprValuC+114], v10    // check NaN and +/-INF
v_med3_f32 v6, v[vgprValuC+114], v8, v9            // Clipping f32 value if exceeds the limit
v_cndmask_b32 v6, v6, v[vgprValuC+114], s[54:55]   // 
v_cmp_class_f32 s[54:55], v[vgprValuC+115], v10    // check NaN and +/-INF
v_med3_f32 v7, v[vgprValuC+115], v8, v9            // Clipping f32 value if exceeds the limit
v_cndmask_b32 v7, v7, v[vgprValuC+115], s[54:55]   // 
v_cvt_pk_fp8_f32  v114, v6, v7 op_sel:[0,0,0]      // convert two f32 accumulated values to fp8 and save it to lo_16[0:15]
s_lshl_b32  s54, s[sgprStrideD1J], 0               // incToNextRow: Scale by BPE
s_add_u32  s[sgprSrdD+0], s[sgprSrdD+0], s54       // incToNextRow: gra SRD += inc(lower)
s_addc_u32  s[sgprSrdD+1], s[sgprSrdD+1], 0        // incToNextRow: gra SRD += inc(upper)
_buffer_store_b16 v114, v11, s[sgprSrdD:sgprSrdD+3], 0, offen, offset:0 // store D

s_waitcnt vmcnt(63)                                // wait C (interleaved) 78 = 79 - 34 + 34 - 1
V_cvt_pk_f32_fp8 v[6:7], v113    // convert two f8 in lo_16 to f32
_v_mac_f32 v[vgprValuC+120], v6, s[sgprBeta]       // finalSum = sum*alpha + C*beta
_v_mac_f32 v[vgprValuC+121], v7, s[sgprBeta]       // finalSum = sum*alpha + C*beta
v_cmp_class_f32 s[54:55], v[vgprValuC+120], v10    // check NaN and +/-INF
v_med3_f32 v6, v[vgprValuC+120], v8, v9            // Clipping f32 value if exceeds the limit
v_cndmask_b32 v6, v6, v[vgprValuC+120], s[54:55]   // 
v_cmp_class_f32 s[54:55], v[vgprValuC+121], v10    // check NaN and +/-INF
v_med3_f32 v7, v[vgprValuC+121], v8, v9            // Clipping f32 value if exceeds the limit
v_cndmask_b32 v7, v7, v[vgprValuC+121], s[54:55]   // 
v_cvt_pk_fp8_f32  v120, v6, v7 op_sel:[0,0,0]      // convert two f32 accumulated values to fp8 and save it to lo_16[0:15]
s_lshl_b32  s54, s[sgprStrideD1J], 0               // incToNextRow: Scale by BPE
	;; [unrolled: 16-line block ×15, first 2 shown]
s_add_u32  s[sgprSrdD+0], s[sgprSrdD+0], s54       // incToNextRow: gra SRD += inc(lower)
s_addc_u32  s[sgprSrdD+1], s[sgprSrdD+1], 0        // incToNextRow: gra SRD += inc(upper)
_buffer_store_b16 v158, v11, s[sgprSrdD:sgprSrdD+3], 0, offen, offset:0 // store D

s_waitcnt vmcnt(63)                                // wait C (interleaved) 78 = 79 - 48 + 48 - 1
V_cvt_pk_f32_fp8 v[6:7], v160    // convert two f8 in lo_16 to f32
_v_mac_f32 v[vgprValuC+162], v6, s[sgprBeta]       // finalSum = sum*alpha + C*beta
_v_mac_f32 v[vgprValuC+163], v7, s[sgprBeta]       // finalSum = sum*alpha + C*beta
v_cmp_class_f32 s[54:55], v[vgprValuC+162], v10    // check NaN and +/-INF
v_med3_f32 v6, v[vgprValuC+162], v8, v9            // Clipping f32 value if exceeds the limit
v_cndmask_b32 v6, v6, v[vgprValuC+162], s[54:55]   // 
v_cmp_class_f32 s[54:55], v[vgprValuC+163], v10    // check NaN and +/-INF
v_med3_f32 v7, v[vgprValuC+163], v8, v9            // Clipping f32 value if exceeds the limit
v_cndmask_b32 v7, v7, v[vgprValuC+163], s[54:55]   // 
v_cvt_pk_fp8_f32  v162, v6, v7 op_sel:[0,0,0]      // convert two f32 accumulated values to fp8 and save it to lo_16[0:15]
s_mul_i32 s54, s[sgprStrideD1J], 17                // scale StrideD *= numRows(17) * bpe
s_add_u32  s[sgprSrdD+0], s[sgprSrdD+0], s54       // incToNextRow: gra SRD += inc(lower)
s_addc_u32  s[sgprSrdD+1], s[sgprSrdD+1], 0        // incToNextRow: gra SRD += inc(upper)
_buffer_store_b16 v162, v11, s[sgprSrdD:sgprSrdD+3], 0, offen, offset:0 // store D

s_waitcnt vmcnt(63)                                // wait C (interleaved) 78 = 79 - 49 + 49 - 1
V_cvt_pk_f32_fp8 v[6:7], v161    // convert two f8 in lo_16 to f32
_v_mac_f32 v[vgprValuC+164], v6, s[sgprBeta]       // finalSum = sum*alpha + C*beta
_v_mac_f32 v[vgprValuC+165], v7, s[sgprBeta]       // finalSum = sum*alpha + C*beta
v_cmp_class_f32 s[54:55], v[vgprValuC+164], v10    // check NaN and +/-INF
v_med3_f32 v6, v[vgprValuC+164], v8, v9            // Clipping f32 value if exceeds the limit
v_cndmask_b32 v6, v6, v[vgprValuC+164], s[54:55]   // 
v_cmp_class_f32 s[54:55], v[vgprValuC+165], v10    // check NaN and +/-INF
v_med3_f32 v7, v[vgprValuC+165], v8, v9            // Clipping f32 value if exceeds the limit
v_cndmask_b32 v7, v7, v[vgprValuC+165], s[54:55]   // 
v_cvt_pk_fp8_f32  v164, v6, v7 op_sel:[0,0,0]      // convert two f32 accumulated values to fp8 and save it to lo_16[0:15]
s_lshl_b32  s54, s[sgprStrideD1J], 0               // incToNextRow: Scale by BPE
s_add_u32  s[sgprSrdD+0], s[sgprSrdD+0], s54       // incToNextRow: gra SRD += inc(lower)
s_addc_u32  s[sgprSrdD+1], s[sgprSrdD+1], 0        // incToNextRow: gra SRD += inc(upper)
_buffer_store_b16 v164, v11, s[sgprSrdD:sgprSrdD+3], 0, offen, offset:0 // store D

s_waitcnt vmcnt(63)                                // wait C (interleaved) 78 = 79 - 50 + 50 - 1
V_cvt_pk_f32_fp8 v[6:7], v166    // convert two f8 in lo_16 to f32
_v_mac_f32 v[vgprValuC+168], v6, s[sgprBeta]       // finalSum = sum*alpha + C*beta
_v_mac_f32 v[vgprValuC+169], v7, s[sgprBeta]       // finalSum = sum*alpha + C*beta
v_cmp_class_f32 s[54:55], v[vgprValuC+168], v10    // check NaN and +/-INF
v_med3_f32 v6, v[vgprValuC+168], v8, v9            // Clipping f32 value if exceeds the limit
v_cndmask_b32 v6, v6, v[vgprValuC+168], s[54:55]   // 
v_cmp_class_f32 s[54:55], v[vgprValuC+169], v10    // check NaN and +/-INF
v_med3_f32 v7, v[vgprValuC+169], v8, v9            // Clipping f32 value if exceeds the limit
v_cndmask_b32 v7, v7, v[vgprValuC+169], s[54:55]   // 
v_cvt_pk_fp8_f32  v168, v6, v7 op_sel:[0,0,0]      // convert two f32 accumulated values to fp8 and save it to lo_16[0:15]
s_lshl_b32  s54, s[sgprStrideD1J], 0               // incToNextRow: Scale by BPE
	;; [unrolled: 16-line block ×15, first 2 shown]
s_add_u32  s[sgprSrdD+0], s[sgprSrdD+0], s54       // incToNextRow: gra SRD += inc(lower)
s_addc_u32  s[sgprSrdD+1], s[sgprSrdD+1], 0        // incToNextRow: gra SRD += inc(upper)
_buffer_store_b16 v206, v11, s[sgprSrdD:sgprSrdD+3], 0, offen, offset:0 // store D

s_waitcnt vmcnt(63)                                // wait C (interleaved) 78 = 79 - 64 + 64 - 1
V_cvt_pk_f32_fp8 v[6:7], v208    // convert two f8 in lo_16 to f32
_v_mac_f32 v[vgprValuC+210], v6, s[sgprBeta]       // finalSum = sum*alpha + C*beta
_v_mac_f32 v[vgprValuC+211], v7, s[sgprBeta]       // finalSum = sum*alpha + C*beta
v_cmp_class_f32 s[54:55], v[vgprValuC+210], v10    // check NaN and +/-INF
v_med3_f32 v6, v[vgprValuC+210], v8, v9            // Clipping f32 value if exceeds the limit
v_cndmask_b32 v6, v6, v[vgprValuC+210], s[54:55]   // 
v_cmp_class_f32 s[54:55], v[vgprValuC+211], v10    // check NaN and +/-INF
v_med3_f32 v7, v[vgprValuC+211], v8, v9            // Clipping f32 value if exceeds the limit
v_cndmask_b32 v7, v7, v[vgprValuC+211], s[54:55]   // 
v_cvt_pk_fp8_f32  v210, v6, v7 op_sel:[0,0,0]      // convert two f32 accumulated values to fp8 and save it to lo_16[0:15]
s_mul_i32 s54, s[sgprStrideD1J], 17                // scale StrideD *= numRows(17) * bpe
s_add_u32  s[sgprSrdD+0], s[sgprSrdD+0], s54       // incToNextRow: gra SRD += inc(lower)
s_addc_u32  s[sgprSrdD+1], s[sgprSrdD+1], 0        // incToNextRow: gra SRD += inc(upper)
_buffer_store_b16 v210, v11, s[sgprSrdD:sgprSrdD+3], 0, offen, offset:0 // store D

s_waitcnt vmcnt(63)                                // wait C (interleaved) 78 = 79 - 65 + 65 - 1
V_cvt_pk_f32_fp8 v[6:7], v209    // convert two f8 in lo_16 to f32
_v_mac_f32 v[vgprValuC+212], v6, s[sgprBeta]       // finalSum = sum*alpha + C*beta
_v_mac_f32 v[vgprValuC+213], v7, s[sgprBeta]       // finalSum = sum*alpha + C*beta
v_cmp_class_f32 s[54:55], v[vgprValuC+212], v10    // check NaN and +/-INF
v_med3_f32 v6, v[vgprValuC+212], v8, v9            // Clipping f32 value if exceeds the limit
v_cndmask_b32 v6, v6, v[vgprValuC+212], s[54:55]   // 
v_cmp_class_f32 s[54:55], v[vgprValuC+213], v10    // check NaN and +/-INF
v_med3_f32 v7, v[vgprValuC+213], v8, v9            // Clipping f32 value if exceeds the limit
v_cndmask_b32 v7, v7, v[vgprValuC+213], s[54:55]   // 
v_cvt_pk_fp8_f32  v212, v6, v7 op_sel:[0,0,0]      // convert two f32 accumulated values to fp8 and save it to lo_16[0:15]
s_lshl_b32  s54, s[sgprStrideD1J], 0               // incToNextRow: Scale by BPE
s_add_u32  s[sgprSrdD+0], s[sgprSrdD+0], s54       // incToNextRow: gra SRD += inc(lower)
s_addc_u32  s[sgprSrdD+1], s[sgprSrdD+1], 0        // incToNextRow: gra SRD += inc(upper)
_buffer_store_b16 v212, v11, s[sgprSrdD:sgprSrdD+3], 0, offen, offset:0 // store D

s_waitcnt vmcnt(63)                                // wait C (interleaved) 78 = 79 - 66 + 66 - 1
V_cvt_pk_f32_fp8 v[6:7], v214    // convert two f8 in lo_16 to f32
_v_mac_f32 v[vgprValuC+216], v6, s[sgprBeta]       // finalSum = sum*alpha + C*beta
_v_mac_f32 v[vgprValuC+217], v7, s[sgprBeta]       // finalSum = sum*alpha + C*beta
v_cmp_class_f32 s[54:55], v[vgprValuC+216], v10    // check NaN and +/-INF
v_med3_f32 v6, v[vgprValuC+216], v8, v9            // Clipping f32 value if exceeds the limit
v_cndmask_b32 v6, v6, v[vgprValuC+216], s[54:55]   // 
v_cmp_class_f32 s[54:55], v[vgprValuC+217], v10    // check NaN and +/-INF
v_med3_f32 v7, v[vgprValuC+217], v8, v9            // Clipping f32 value if exceeds the limit
v_cndmask_b32 v7, v7, v[vgprValuC+217], s[54:55]   // 
v_cvt_pk_fp8_f32  v216, v6, v7 op_sel:[0,0,0]      // convert two f32 accumulated values to fp8 and save it to lo_16[0:15]
s_lshl_b32  s54, s[sgprStrideD1J], 0               // incToNextRow: Scale by BPE
s_add_u32  s[sgprSrdD+0], s[sgprSrdD+0], s54       // incToNextRow: gra SRD += inc(lower)
s_addc_u32  s[sgprSrdD+1], s[sgprSrdD+1], 0        // incToNextRow: gra SRD += inc(upper)
_buffer_store_b16 v216, v11, s[sgprSrdD:sgprSrdD+3], 0, offen, offset:0 // store D

s_waitcnt vmcnt(63)                                // wait C (interleaved) 78 = 79 - 67 + 67 - 1
V_cvt_pk_f32_fp8 v[6:7], v215    // convert two f8 in lo_16 to f32
_v_mac_f32 v[vgprValuC+218], v6, s[sgprBeta]       // finalSum = sum*alpha + C*beta
_v_mac_f32 v[vgprValuC+219], v7, s[sgprBeta]       // finalSum = sum*alpha + C*beta
v_cmp_class_f32 s[54:55], v[vgprValuC+218], v10    // check NaN and +/-INF
v_med3_f32 v6, v[vgprValuC+218], v8, v9            // Clipping f32 value if exceeds the limit
v_cndmask_b32 v6, v6, v[vgprValuC+218], s[54:55]   // 
v_cmp_class_f32 s[54:55], v[vgprValuC+219], v10    // check NaN and +/-INF
v_med3_f32 v7, v[vgprValuC+219], v8, v9            // Clipping f32 value if exceeds the limit
v_cndmask_b32 v7, v7, v[vgprValuC+219], s[54:55]   // 
v_cvt_pk_fp8_f32  v218, v6, v7 op_sel:[0,0,0]      // convert two f32 accumulated values to fp8 and save it to lo_16[0:15]
s_lshl_b32  s54, s[sgprStrideD1J], 0               // incToNextRow: Scale by BPE
s_add_u32  s[sgprSrdD+0], s[sgprSrdD+0], s54       // incToNextRow: gra SRD += inc(lower)
s_addc_u32  s[sgprSrdD+1], s[sgprSrdD+1], 0        // incToNextRow: gra SRD += inc(upper)
_buffer_store_b16 v218, v11, s[sgprSrdD:sgprSrdD+3], 0, offen, offset:0 // store D

s_waitcnt vmcnt(63)                                // wait C (interleaved) 78 = 79 - 68 + 68 - 1
V_cvt_pk_f32_fp8 v[6:7], v220    // convert two f8 in lo_16 to f32
_v_mac_f32 v[vgprValuC+222], v6, s[sgprBeta]       // finalSum = sum*alpha + C*beta
_v_mac_f32 v[vgprValuC+223], v7, s[sgprBeta]       // finalSum = sum*alpha + C*beta
v_cmp_class_f32 s[54:55], v[vgprValuC+222], v10    // check NaN and +/-INF
v_med3_f32 v6, v[vgprValuC+222], v8, v9            // Clipping f32 value if exceeds the limit
v_cndmask_b32 v6, v6, v[vgprValuC+222], s[54:55]   // 
v_cmp_class_f32 s[54:55], v[vgprValuC+223], v10    // check NaN and +/-INF
v_med3_f32 v7, v[vgprValuC+223], v8, v9            // Clipping f32 value if exceeds the limit
v_cndmask_b32 v7, v7, v[vgprValuC+223], s[54:55]   // 
v_cvt_pk_fp8_f32  v222, v6, v7 op_sel:[0,0,0]      // convert two f32 accumulated values to fp8 and save it to lo_16[0:15]
s_lshl_b32  s54, s[sgprStrideD1J], 0               // incToNextRow: Scale by BPE
s_add_u32  s[sgprSrdD+0], s[sgprSrdD+0], s54       // incToNextRow: gra SRD += inc(lower)
s_addc_u32  s[sgprSrdD+1], s[sgprSrdD+1], 0        // incToNextRow: gra SRD += inc(upper)
_buffer_store_b16 v222, v11, s[sgprSrdD:sgprSrdD+3], 0, offen, offset:0 // store D

s_waitcnt vmcnt(63)                                // wait C (interleaved) 78 = 79 - 69 + 69 - 1
V_cvt_pk_f32_fp8 v[6:7], v221    // convert two f8 in lo_16 to f32
_v_mac_f32 v[vgprValuC+224], v6, s[sgprBeta]       // finalSum = sum*alpha + C*beta
_v_mac_f32 v[vgprValuC+225], v7, s[sgprBeta]       // finalSum = sum*alpha + C*beta
v_cmp_class_f32 s[54:55], v[vgprValuC+224], v10    // check NaN and +/-INF
v_med3_f32 v6, v[vgprValuC+224], v8, v9            // Clipping f32 value if exceeds the limit
v_cndmask_b32 v6, v6, v[vgprValuC+224], s[54:55]   // 
v_cmp_class_f32 s[54:55], v[vgprValuC+225], v10    // check NaN and +/-INF
v_med3_f32 v7, v[vgprValuC+225], v8, v9            // Clipping f32 value if exceeds the limit
v_cndmask_b32 v7, v7, v[vgprValuC+225], s[54:55]   // 
v_cvt_pk_fp8_f32  v224, v6, v7 op_sel:[0,0,0]      // convert two f32 accumulated values to fp8 and save it to lo_16[0:15]
s_lshl_b32  s54, s[sgprStrideD1J], 0               // incToNextRow: Scale by BPE
s_add_u32  s[sgprSrdD+0], s[sgprSrdD+0], s54       // incToNextRow: gra SRD += inc(lower)
s_addc_u32  s[sgprSrdD+1], s[sgprSrdD+1], 0        // incToNextRow: gra SRD += inc(upper)
_buffer_store_b16 v224, v11, s[sgprSrdD:sgprSrdD+3], 0, offen, offset:0 // store D

s_waitcnt vmcnt(63)                                // wait C (interleaved) 78 = 79 - 70 + 70 - 1
V_cvt_pk_f32_fp8 v[6:7], v226    // convert two f8 in lo_16 to f32
_v_mac_f32 v[vgprValuC+228], v6, s[sgprBeta]       // finalSum = sum*alpha + C*beta
_v_mac_f32 v[vgprValuC+229], v7, s[sgprBeta]       // finalSum = sum*alpha + C*beta
v_cmp_class_f32 s[54:55], v[vgprValuC+228], v10    // check NaN and +/-INF
v_med3_f32 v6, v[vgprValuC+228], v8, v9            // Clipping f32 value if exceeds the limit
v_cndmask_b32 v6, v6, v[vgprValuC+228], s[54:55]   // 
v_cmp_class_f32 s[54:55], v[vgprValuC+229], v10    // check NaN and +/-INF
v_med3_f32 v7, v[vgprValuC+229], v8, v9            // Clipping f32 value if exceeds the limit
v_cndmask_b32 v7, v7, v[vgprValuC+229], s[54:55]   // 
v_cvt_pk_fp8_f32  v228, v6, v7 op_sel:[0,0,0]      // convert two f32 accumulated values to fp8 and save it to lo_16[0:15]
s_lshl_b32  s54, s[sgprStrideD1J], 0               // incToNextRow: Scale by BPE
s_add_u32  s[sgprSrdD+0], s[sgprSrdD+0], s54       // incToNextRow: gra SRD += inc(lower)
s_addc_u32  s[sgprSrdD+1], s[sgprSrdD+1], 0        // incToNextRow: gra SRD += inc(upper)
_buffer_store_b16 v228, v11, s[sgprSrdD:sgprSrdD+3], 0, offen, offset:0 // store D

s_waitcnt vmcnt(63)                                // wait C (interleaved) 78 = 79 - 71 + 71 - 1
V_cvt_pk_f32_fp8 v[6:7], v227    // convert two f8 in lo_16 to f32
_v_mac_f32 v[vgprValuC+230], v6, s[sgprBeta]       // finalSum = sum*alpha + C*beta
_v_mac_f32 v[vgprValuC+231], v7, s[sgprBeta]       // finalSum = sum*alpha + C*beta
v_cmp_class_f32 s[54:55], v[vgprValuC+230], v10    // check NaN and +/-INF
v_med3_f32 v6, v[vgprValuC+230], v8, v9            // Clipping f32 value if exceeds the limit
v_cndmask_b32 v6, v6, v[vgprValuC+230], s[54:55]   // 
v_cmp_class_f32 s[54:55], v[vgprValuC+231], v10    // check NaN and +/-INF
v_med3_f32 v7, v[vgprValuC+231], v8, v9            // Clipping f32 value if exceeds the limit
v_cndmask_b32 v7, v7, v[vgprValuC+231], s[54:55]   // 
v_cvt_pk_fp8_f32  v230, v6, v7 op_sel:[0,0,0]      // convert two f32 accumulated values to fp8 and save it to lo_16[0:15]
s_lshl_b32  s54, s[sgprStrideD1J], 0               // incToNextRow: Scale by BPE
s_add_u32  s[sgprSrdD+0], s[sgprSrdD+0], s54       // incToNextRow: gra SRD += inc(lower)
s_addc_u32  s[sgprSrdD+1], s[sgprSrdD+1], 0        // incToNextRow: gra SRD += inc(upper)
_buffer_store_b16 v230, v11, s[sgprSrdD:sgprSrdD+3], 0, offen, offset:0 // store D

s_waitcnt vmcnt(63)                                // wait C (interleaved) 78 = 79 - 72 + 72 - 1
V_cvt_pk_f32_fp8 v[6:7], v232    // convert two f8 in lo_16 to f32
_v_mac_f32 v[vgprValuC+234], v6, s[sgprBeta]       // finalSum = sum*alpha + C*beta
_v_mac_f32 v[vgprValuC+235], v7, s[sgprBeta]       // finalSum = sum*alpha + C*beta
v_cmp_class_f32 s[54:55], v[vgprValuC+234], v10    // check NaN and +/-INF
v_med3_f32 v6, v[vgprValuC+234], v8, v9            // Clipping f32 value if exceeds the limit
v_cndmask_b32 v6, v6, v[vgprValuC+234], s[54:55]   // 
v_cmp_class_f32 s[54:55], v[vgprValuC+235], v10    // check NaN and +/-INF
v_med3_f32 v7, v[vgprValuC+235], v8, v9            // Clipping f32 value if exceeds the limit
v_cndmask_b32 v7, v7, v[vgprValuC+235], s[54:55]   // 
v_cvt_pk_fp8_f32  v234, v6, v7 op_sel:[0,0,0]      // convert two f32 accumulated values to fp8 and save it to lo_16[0:15]
s_lshl_b32  s54, s[sgprStrideD1J], 0               // incToNextRow: Scale by BPE
s_add_u32  s[sgprSrdD+0], s[sgprSrdD+0], s54       // incToNextRow: gra SRD += inc(lower)
s_addc_u32  s[sgprSrdD+1], s[sgprSrdD+1], 0        // incToNextRow: gra SRD += inc(upper)
_buffer_store_b16 v234, v11, s[sgprSrdD:sgprSrdD+3], 0, offen, offset:0 // store D

s_waitcnt vmcnt(63)                                // wait C (interleaved) 78 = 79 - 73 + 73 - 1
V_cvt_pk_f32_fp8 v[6:7], v233    // convert two f8 in lo_16 to f32
_v_mac_f32 v[vgprValuC+236], v6, s[sgprBeta]       // finalSum = sum*alpha + C*beta
_v_mac_f32 v[vgprValuC+237], v7, s[sgprBeta]       // finalSum = sum*alpha + C*beta
v_cmp_class_f32 s[54:55], v[vgprValuC+236], v10    // check NaN and +/-INF
v_med3_f32 v6, v[vgprValuC+236], v8, v9            // Clipping f32 value if exceeds the limit
v_cndmask_b32 v6, v6, v[vgprValuC+236], s[54:55]   // 
v_cmp_class_f32 s[54:55], v[vgprValuC+237], v10    // check NaN and +/-INF
v_med3_f32 v7, v[vgprValuC+237], v8, v9            // Clipping f32 value if exceeds the limit
v_cndmask_b32 v7, v7, v[vgprValuC+237], s[54:55]   // 
v_cvt_pk_fp8_f32  v236, v6, v7 op_sel:[0,0,0]      // convert two f32 accumulated values to fp8 and save it to lo_16[0:15]
s_lshl_b32  s54, s[sgprStrideD1J], 0               // incToNextRow: Scale by BPE
s_add_u32  s[sgprSrdD+0], s[sgprSrdD+0], s54       // incToNextRow: gra SRD += inc(lower)
s_addc_u32  s[sgprSrdD+1], s[sgprSrdD+1], 0        // incToNextRow: gra SRD += inc(upper)
_buffer_store_b16 v236, v11, s[sgprSrdD:sgprSrdD+3], 0, offen, offset:0 // store D

s_waitcnt vmcnt(63)                                // wait C (interleaved) 78 = 79 - 74 + 74 - 1
V_cvt_pk_f32_fp8 v[6:7], v238    // convert two f8 in lo_16 to f32
_v_mac_f32 v[vgprValuC+240], v6, s[sgprBeta]       // finalSum = sum*alpha + C*beta
_v_mac_f32 v[vgprValuC+241], v7, s[sgprBeta]       // finalSum = sum*alpha + C*beta
v_cmp_class_f32 s[54:55], v[vgprValuC+240], v10    // check NaN and +/-INF
v_med3_f32 v6, v[vgprValuC+240], v8, v9            // Clipping f32 value if exceeds the limit
v_cndmask_b32 v6, v6, v[vgprValuC+240], s[54:55]   // 
v_cmp_class_f32 s[54:55], v[vgprValuC+241], v10    // check NaN and +/-INF
v_med3_f32 v7, v[vgprValuC+241], v8, v9            // Clipping f32 value if exceeds the limit
v_cndmask_b32 v7, v7, v[vgprValuC+241], s[54:55]   // 
v_cvt_pk_fp8_f32  v240, v6, v7 op_sel:[0,0,0]      // convert two f32 accumulated values to fp8 and save it to lo_16[0:15]
s_lshl_b32  s54, s[sgprStrideD1J], 0               // incToNextRow: Scale by BPE
s_add_u32  s[sgprSrdD+0], s[sgprSrdD+0], s54       // incToNextRow: gra SRD += inc(lower)
s_addc_u32  s[sgprSrdD+1], s[sgprSrdD+1], 0        // incToNextRow: gra SRD += inc(upper)
_buffer_store_b16 v240, v11, s[sgprSrdD:sgprSrdD+3], 0, offen, offset:0 // store D

s_waitcnt vmcnt(63)                                // wait C (interleaved) 78 = 79 - 75 + 75 - 1
V_cvt_pk_f32_fp8 v[6:7], v239    // convert two f8 in lo_16 to f32
_v_mac_f32 v[vgprValuC+242], v6, s[sgprBeta]       // finalSum = sum*alpha + C*beta
_v_mac_f32 v[vgprValuC+243], v7, s[sgprBeta]       // finalSum = sum*alpha + C*beta
v_cmp_class_f32 s[54:55], v[vgprValuC+242], v10    // check NaN and +/-INF
v_med3_f32 v6, v[vgprValuC+242], v8, v9            // Clipping f32 value if exceeds the limit
v_cndmask_b32 v6, v6, v[vgprValuC+242], s[54:55]   // 
v_cmp_class_f32 s[54:55], v[vgprValuC+243], v10    // check NaN and +/-INF
v_med3_f32 v7, v[vgprValuC+243], v8, v9            // Clipping f32 value if exceeds the limit
v_cndmask_b32 v7, v7, v[vgprValuC+243], s[54:55]   // 
v_cvt_pk_fp8_f32  v242, v6, v7 op_sel:[0,0,0]      // convert two f32 accumulated values to fp8 and save it to lo_16[0:15]
s_lshl_b32  s54, s[sgprStrideD1J], 0               // incToNextRow: Scale by BPE
s_add_u32  s[sgprSrdD+0], s[sgprSrdD+0], s54       // incToNextRow: gra SRD += inc(lower)
s_addc_u32  s[sgprSrdD+1], s[sgprSrdD+1], 0        // incToNextRow: gra SRD += inc(upper)
_buffer_store_b16 v242, v11, s[sgprSrdD:sgprSrdD+3], 0, offen, offset:0 // store D

s_waitcnt vmcnt(63)                                // wait C (interleaved) 78 = 79 - 76 + 76 - 1
V_cvt_pk_f32_fp8 v[6:7], v244    // convert two f8 in lo_16 to f32
_v_mac_f32 v[vgprValuC+246], v6, s[sgprBeta]       // finalSum = sum*alpha + C*beta
_v_mac_f32 v[vgprValuC+247], v7, s[sgprBeta]       // finalSum = sum*alpha + C*beta
v_cmp_class_f32 s[54:55], v[vgprValuC+246], v10    // check NaN and +/-INF
v_med3_f32 v6, v[vgprValuC+246], v8, v9            // Clipping f32 value if exceeds the limit
v_cndmask_b32 v6, v6, v[vgprValuC+246], s[54:55]   // 
v_cmp_class_f32 s[54:55], v[vgprValuC+247], v10    // check NaN and +/-INF
v_med3_f32 v7, v[vgprValuC+247], v8, v9            // Clipping f32 value if exceeds the limit
v_cndmask_b32 v7, v7, v[vgprValuC+247], s[54:55]   // 
v_cvt_pk_fp8_f32  v246, v6, v7 op_sel:[0,0,0]      // convert two f32 accumulated values to fp8 and save it to lo_16[0:15]
s_lshl_b32  s54, s[sgprStrideD1J], 0               // incToNextRow: Scale by BPE
s_add_u32  s[sgprSrdD+0], s[sgprSrdD+0], s54       // incToNextRow: gra SRD += inc(lower)
s_addc_u32  s[sgprSrdD+1], s[sgprSrdD+1], 0        // incToNextRow: gra SRD += inc(upper)
_buffer_store_b16 v246, v11, s[sgprSrdD:sgprSrdD+3], 0, offen, offset:0 // store D

s_waitcnt vmcnt(63)                                // wait C (interleaved) 78 = 79 - 77 + 77 - 1
V_cvt_pk_f32_fp8 v[6:7], v245    // convert two f8 in lo_16 to f32
_v_mac_f32 v[vgprValuC+248], v6, s[sgprBeta]       // finalSum = sum*alpha + C*beta
_v_mac_f32 v[vgprValuC+249], v7, s[sgprBeta]       // finalSum = sum*alpha + C*beta
v_cmp_class_f32 s[54:55], v[vgprValuC+248], v10    // check NaN and +/-INF
v_med3_f32 v6, v[vgprValuC+248], v8, v9            // Clipping f32 value if exceeds the limit
v_cndmask_b32 v6, v6, v[vgprValuC+248], s[54:55]   // 
v_cmp_class_f32 s[54:55], v[vgprValuC+249], v10    // check NaN and +/-INF
v_med3_f32 v7, v[vgprValuC+249], v8, v9            // Clipping f32 value if exceeds the limit
v_cndmask_b32 v7, v7, v[vgprValuC+249], s[54:55]   // 
v_cvt_pk_fp8_f32  v248, v6, v7 op_sel:[0,0,0]      // convert two f32 accumulated values to fp8 and save it to lo_16[0:15]
s_lshl_b32  s54, s[sgprStrideD1J], 0               // incToNextRow: Scale by BPE
s_add_u32  s[sgprSrdD+0], s[sgprSrdD+0], s54       // incToNextRow: gra SRD += inc(lower)
s_addc_u32  s[sgprSrdD+1], s[sgprSrdD+1], 0        // incToNextRow: gra SRD += inc(upper)
_buffer_store_b16 v248, v11, s[sgprSrdD:sgprSrdD+3], 0, offen, offset:0 // store D

s_waitcnt vmcnt(63)                                // wait C (interleaved) 78 = 79 - 78 + 78 - 1
V_cvt_pk_f32_fp8 v[6:7], v250    // convert two f8 in lo_16 to f32
_v_mac_f32 v[vgprValuC+252], v6, s[sgprBeta]       // finalSum = sum*alpha + C*beta
_v_mac_f32 v[vgprValuC+253], v7, s[sgprBeta]       // finalSum = sum*alpha + C*beta
v_cmp_class_f32 s[54:55], v[vgprValuC+252], v10    // check NaN and +/-INF
v_med3_f32 v6, v[vgprValuC+252], v8, v9            // Clipping f32 value if exceeds the limit
v_cndmask_b32 v6, v6, v[vgprValuC+252], s[54:55]   // 
v_cmp_class_f32 s[54:55], v[vgprValuC+253], v10    // check NaN and +/-INF
v_med3_f32 v7, v[vgprValuC+253], v8, v9            // Clipping f32 value if exceeds the limit
v_cndmask_b32 v7, v7, v[vgprValuC+253], s[54:55]   // 
v_cvt_pk_fp8_f32  v252, v6, v7 op_sel:[0,0,0]      // convert two f32 accumulated values to fp8 and save it to lo_16[0:15]
s_lshl_b32  s54, s[sgprStrideD1J], 0               // incToNextRow: Scale by BPE
s_add_u32  s[sgprSrdD+0], s[sgprSrdD+0], s54       // incToNextRow: gra SRD += inc(lower)
s_addc_u32  s[sgprSrdD+1], s[sgprSrdD+1], 0        // incToNextRow: gra SRD += inc(upper)
_buffer_store_b16 v252, v11, s[sgprSrdD:sgprSrdD+3], 0, offen, offset:0 // store D
s_nop 0                                            // 1 wait state required when next inst writes vgprs held by previous dwordx4 store inst
/* optSingleColVgpr=1 optSharedColVgpr=0 optSGPRUsage=BufferLoad_Mask optSrdIncForRow=1 */

/******************************************/
/* Global Write Alpha Beta Batch #1 (d1,d0,vc1,vc0) = */
/*    (4,0,15,0:vw2); (5,0,0,0:vw2); (5,0,1,0:vw2); (5,0,2,0:vw2); (5,0,3,0:vw2); (5,0,4,0:vw2); (5,0,5,0:vw2); (5,0,6,0:vw2); (5,0,7,0:vw2); (5,0,8,0:vw2); (5,0,9,0:vw2); (5,0,10,0:vw2); (5,0,11,0:vw2); (5,0,12,0:vw2); (5,0,13,0:vw2); (5,0,14,0:vw2); (5,0,15,0:vw2); (6,0,0,0:vw2); (6,0,1,0:vw2); (6,0,2,0:vw2); (6,0,3,0:vw2); (6,0,4,0:vw2); (6,0,5,0:vw2); (6,0,6,0:vw2); (6,0,7,0:vw2); (6,0,8,0:vw2); (6,0,9,0:vw2); (6,0,10,0:vw2); (6,0,11,0:vw2); (6,0,12,0:vw2); (6,0,13,0:vw2); (6,0,14,0:vw2); (6,0,15,0:vw2); (7,0,0,0:vw2); (7,0,1,0:vw2); (7,0,2,0:vw2); (7,0,3,0:vw2); (7,0,4,0:vw2); (7,0,5,0:vw2); (7,0,6,0:vw2); (7,0,7,0:vw2); (7,0,8,0:vw2); (7,0,9,0:vw2); (7,0,10,0:vw2); (7,0,11,0:vw2); (7,0,12,0:vw2); (7,0,13,0:vw2); (7,0,14,0:vw2); (7,0,15,0:vw2) */
/******************************************/

/* calc coords, apply mask, and issue loads (if necessary) */
/* (d1,vc1,d0,vc0)=(4,15,0,0) */
s_lshl_b32  s54, s[sgprStrideC1J], 0               // incToNextRow: Scale by BPE
s_add_u32  s[sgprSrdC+0], s[sgprSrdC+0], s54       // incToNextRow: gra SRD += inc(lower)
s_addc_u32  s[sgprSrdC+1], s[sgprSrdC+1], 0        // incToNextRow: gra SRD += inc(upper)
_buffer_load_d16_b16 v13, v12, s[sgprSrdC:sgprSrdC+3], 0, offen offset:0 // load C for beta calc
/* (d1,vc1,d0,vc0)=(5,0,0,0) */
s_mul_i32 s54, s[sgprStrideC1J], 17                // scale StrideC *= numRows(17) * bpe
s_add_u32  s[sgprSrdC+0], s[sgprSrdC+0], s54       // incToNextRow: gra SRD += inc(lower)
s_addc_u32  s[sgprSrdC+1], s[sgprSrdC+1], 0        // incToNextRow: gra SRD += inc(upper)
_buffer_load_d16_b16 v16, v12, s[sgprSrdC:sgprSrdC+3], 0, offen offset:0 // load C for beta calc
/* (d1,vc1,d0,vc0)=(5,1,0,0) */
s_lshl_b32  s54, s[sgprStrideC1J], 0               // incToNextRow: Scale by BPE
s_add_u32  s[sgprSrdC+0], s[sgprSrdC+0], s54       // incToNextRow: gra SRD += inc(lower)
s_addc_u32  s[sgprSrdC+1], s[sgprSrdC+1], 0        // incToNextRow: gra SRD += inc(upper)
_buffer_load_d16_b16 v17, v12, s[sgprSrdC:sgprSrdC+3], 0, offen offset:0 // load C for beta calc
/* (d1,vc1,d0,vc0)=(5,2,0,0) */
s_lshl_b32  s54, s[sgprStrideC1J], 0               // incToNextRow: Scale by BPE
	;; [unrolled: 5-line block ×15, first 2 shown]
s_add_u32  s[sgprSrdC+0], s[sgprSrdC+0], s54       // incToNextRow: gra SRD += inc(lower)
s_addc_u32  s[sgprSrdC+1], s[sgprSrdC+1], 0        // incToNextRow: gra SRD += inc(upper)
_buffer_load_d16_b16 v59, v12, s[sgprSrdC:sgprSrdC+3], 0, offen offset:0 // load C for beta calc
/* (d1,vc1,d0,vc0)=(6,0,0,0) */
s_mul_i32 s54, s[sgprStrideC1J], 17                // scale StrideC *= numRows(17) * bpe
s_add_u32  s[sgprSrdC+0], s[sgprSrdC+0], s54       // incToNextRow: gra SRD += inc(lower)
s_addc_u32  s[sgprSrdC+1], s[sgprSrdC+1], 0        // incToNextRow: gra SRD += inc(upper)
_buffer_load_d16_b16 v64, v12, s[sgprSrdC:sgprSrdC+3], 0, offen offset:0 // load C for beta calc
/* (d1,vc1,d0,vc0)=(6,1,0,0) */
s_lshl_b32  s54, s[sgprStrideC1J], 0               // incToNextRow: Scale by BPE
s_add_u32  s[sgprSrdC+0], s[sgprSrdC+0], s54       // incToNextRow: gra SRD += inc(lower)
s_addc_u32  s[sgprSrdC+1], s[sgprSrdC+1], 0        // incToNextRow: gra SRD += inc(upper)
_buffer_load_d16_b16 v65, v12, s[sgprSrdC:sgprSrdC+3], 0, offen offset:0 // load C for beta calc
/* (d1,vc1,d0,vc0)=(6,2,0,0) */
s_lshl_b32  s54, s[sgprStrideC1J], 0               // incToNextRow: Scale by BPE
	;; [unrolled: 5-line block ×15, first 2 shown]
s_add_u32  s[sgprSrdC+0], s[sgprSrdC+0], s54       // incToNextRow: gra SRD += inc(lower)
s_addc_u32  s[sgprSrdC+1], s[sgprSrdC+1], 0        // incToNextRow: gra SRD += inc(upper)
_buffer_load_d16_b16 v107, v12, s[sgprSrdC:sgprSrdC+3], 0, offen offset:0 // load C for beta calc
/* (d1,vc1,d0,vc0)=(7,0,0,0) */
s_mul_i32 s54, s[sgprStrideC1J], 17                // scale StrideC *= numRows(17) * bpe
s_add_u32  s[sgprSrdC+0], s[sgprSrdC+0], s54       // incToNextRow: gra SRD += inc(lower)
s_addc_u32  s[sgprSrdC+1], s[sgprSrdC+1], 0        // incToNextRow: gra SRD += inc(upper)
_buffer_load_d16_b16 v112, v12, s[sgprSrdC:sgprSrdC+3], 0, offen offset:0 // load C for beta calc
/* (d1,vc1,d0,vc0)=(7,1,0,0) */
s_lshl_b32  s54, s[sgprStrideC1J], 0               // incToNextRow: Scale by BPE
s_add_u32  s[sgprSrdC+0], s[sgprSrdC+0], s54       // incToNextRow: gra SRD += inc(lower)
s_addc_u32  s[sgprSrdC+1], s[sgprSrdC+1], 0        // incToNextRow: gra SRD += inc(upper)
_buffer_load_d16_b16 v113, v12, s[sgprSrdC:sgprSrdC+3], 0, offen offset:0 // load C for beta calc
/* (d1,vc1,d0,vc0)=(7,2,0,0) */
s_lshl_b32  s54, s[sgprStrideC1J], 0               // incToNextRow: Scale by BPE
	;; [unrolled: 5-line block ×15, first 2 shown]
s_add_u32  s[sgprSrdC+0], s[sgprSrdC+0], s54       // incToNextRow: gra SRD += inc(lower)
s_addc_u32  s[sgprSrdC+1], s[sgprSrdC+1], 0        // incToNextRow: gra SRD += inc(upper)
_buffer_load_d16_b16 v160, v12, s[sgprSrdC:sgprSrdC+3], 0, offen offset:0 // load C for beta calc
v_accvgpr_read_b32 v[vgprValuC+14], acc227 // copy acc to vreg[158]
v_accvgpr_read_b32 v[vgprValuC+15], acc243 // copy acc to vreg[159]
v_accvgpr_read_b32 v[vgprValuC+18], acc132 // copy acc to vreg[160]
v_accvgpr_read_b32 v[vgprValuC+19], acc148 // copy acc to vreg[161]
v_accvgpr_read_b32 v[vgprValuC+20], acc164 // copy acc to vreg[162]
v_accvgpr_read_b32 v[vgprValuC+21], acc180 // copy acc to vreg[163]
v_accvgpr_read_b32 v[vgprValuC+24], acc196 // copy acc to vreg[164]
v_accvgpr_read_b32 v[vgprValuC+25], acc212 // copy acc to vreg[165]
v_accvgpr_read_b32 v[vgprValuC+26], acc228 // copy acc to vreg[166]
v_accvgpr_read_b32 v[vgprValuC+27], acc244 // copy acc to vreg[167]
v_accvgpr_read_b32 v[vgprValuC+30], acc133 // copy acc to vreg[168]
v_accvgpr_read_b32 v[vgprValuC+31], acc149 // copy acc to vreg[169]
v_accvgpr_read_b32 v[vgprValuC+32], acc165 // copy acc to vreg[170]
v_accvgpr_read_b32 v[vgprValuC+33], acc181 // copy acc to vreg[171]
v_accvgpr_read_b32 v[vgprValuC+36], acc197 // copy acc to vreg[172]
v_accvgpr_read_b32 v[vgprValuC+37], acc213 // copy acc to vreg[173]
v_accvgpr_read_b32 v[vgprValuC+38], acc229 // copy acc to vreg[174]
v_accvgpr_read_b32 v[vgprValuC+39], acc245 // copy acc to vreg[175]
v_accvgpr_read_b32 v[vgprValuC+42], acc134 // copy acc to vreg[176]
v_accvgpr_read_b32 v[vgprValuC+43], acc150 // copy acc to vreg[177]
v_accvgpr_read_b32 v[vgprValuC+44], acc166 // copy acc to vreg[178]
v_accvgpr_read_b32 v[vgprValuC+45], acc182 // copy acc to vreg[179]
v_accvgpr_read_b32 v[vgprValuC+48], acc198 // copy acc to vreg[180]
v_accvgpr_read_b32 v[vgprValuC+49], acc214 // copy acc to vreg[181]
v_accvgpr_read_b32 v[vgprValuC+50], acc230 // copy acc to vreg[182]
v_accvgpr_read_b32 v[vgprValuC+51], acc246 // copy acc to vreg[183]
v_accvgpr_read_b32 v[vgprValuC+54], acc135 // copy acc to vreg[184]
v_accvgpr_read_b32 v[vgprValuC+55], acc151 // copy acc to vreg[185]
v_accvgpr_read_b32 v[vgprValuC+56], acc167 // copy acc to vreg[186]
v_accvgpr_read_b32 v[vgprValuC+57], acc183 // copy acc to vreg[187]
v_accvgpr_read_b32 v[vgprValuC+60], acc199 // copy acc to vreg[188]
v_accvgpr_read_b32 v[vgprValuC+61], acc215 // copy acc to vreg[189]
v_accvgpr_read_b32 v[vgprValuC+62], acc231 // copy acc to vreg[190]
v_accvgpr_read_b32 v[vgprValuC+63], acc247 // copy acc to vreg[191]
v_accvgpr_read_b32 v[vgprValuC+66], acc136 // copy acc to vreg[192]
v_accvgpr_read_b32 v[vgprValuC+67], acc152 // copy acc to vreg[193]
v_accvgpr_read_b32 v[vgprValuC+68], acc168 // copy acc to vreg[194]
v_accvgpr_read_b32 v[vgprValuC+69], acc184 // copy acc to vreg[195]
v_accvgpr_read_b32 v[vgprValuC+72], acc200 // copy acc to vreg[196]
v_accvgpr_read_b32 v[vgprValuC+73], acc216 // copy acc to vreg[197]
v_accvgpr_read_b32 v[vgprValuC+74], acc232 // copy acc to vreg[198]
v_accvgpr_read_b32 v[vgprValuC+75], acc248 // copy acc to vreg[199]
v_accvgpr_read_b32 v[vgprValuC+78], acc137 // copy acc to vreg[200]
v_accvgpr_read_b32 v[vgprValuC+79], acc153 // copy acc to vreg[201]
v_accvgpr_read_b32 v[vgprValuC+80], acc169 // copy acc to vreg[202]
v_accvgpr_read_b32 v[vgprValuC+81], acc185 // copy acc to vreg[203]
v_accvgpr_read_b32 v[vgprValuC+84], acc201 // copy acc to vreg[204]
v_accvgpr_read_b32 v[vgprValuC+85], acc217 // copy acc to vreg[205]
v_accvgpr_read_b32 v[vgprValuC+86], acc233 // copy acc to vreg[206]
v_accvgpr_read_b32 v[vgprValuC+87], acc249 // copy acc to vreg[207]
v_accvgpr_read_b32 v[vgprValuC+90], acc138 // copy acc to vreg[208]
v_accvgpr_read_b32 v[vgprValuC+91], acc154 // copy acc to vreg[209]
v_accvgpr_read_b32 v[vgprValuC+92], acc170 // copy acc to vreg[210]
v_accvgpr_read_b32 v[vgprValuC+93], acc186 // copy acc to vreg[211]
v_accvgpr_read_b32 v[vgprValuC+96], acc202 // copy acc to vreg[212]
v_accvgpr_read_b32 v[vgprValuC+97], acc218 // copy acc to vreg[213]
v_accvgpr_read_b32 v[vgprValuC+98], acc234 // copy acc to vreg[214]
v_accvgpr_read_b32 v[vgprValuC+99], acc250 // copy acc to vreg[215]
v_accvgpr_read_b32 v[vgprValuC+102], acc139 // copy acc to vreg[216]
v_accvgpr_read_b32 v[vgprValuC+103], acc155 // copy acc to vreg[217]
v_accvgpr_read_b32 v[vgprValuC+104], acc171 // copy acc to vreg[218]
v_accvgpr_read_b32 v[vgprValuC+105], acc187 // copy acc to vreg[219]
v_accvgpr_read_b32 v[vgprValuC+108], acc203 // copy acc to vreg[220]
v_accvgpr_read_b32 v[vgprValuC+109], acc219 // copy acc to vreg[221]
v_accvgpr_read_b32 v[vgprValuC+110], acc235 // copy acc to vreg[222]
v_accvgpr_read_b32 v[vgprValuC+111], acc251 // copy acc to vreg[223]
v_accvgpr_read_b32 v[vgprValuC+114], acc140 // copy acc to vreg[224]
v_accvgpr_read_b32 v[vgprValuC+115], acc156 // copy acc to vreg[225]
v_accvgpr_read_b32 v[vgprValuC+120], acc172 // copy acc to vreg[226]
v_accvgpr_read_b32 v[vgprValuC+121], acc188 // copy acc to vreg[227]
v_accvgpr_read_b32 v[vgprValuC+122], acc204 // copy acc to vreg[228]
v_accvgpr_read_b32 v[vgprValuC+123], acc220 // copy acc to vreg[229]
v_accvgpr_read_b32 v[vgprValuC+126], acc236 // copy acc to vreg[230]
v_accvgpr_read_b32 v[vgprValuC+127], acc252 // copy acc to vreg[231]
v_accvgpr_read_b32 v[vgprValuC+128], acc141 // copy acc to vreg[232]
v_accvgpr_read_b32 v[vgprValuC+129], acc157 // copy acc to vreg[233]
v_accvgpr_read_b32 v[vgprValuC+132], acc173 // copy acc to vreg[234]
v_accvgpr_read_b32 v[vgprValuC+133], acc189 // copy acc to vreg[235]
v_accvgpr_read_b32 v[vgprValuC+134], acc205 // copy acc to vreg[236]
v_accvgpr_read_b32 v[vgprValuC+135], acc221 // copy acc to vreg[237]
v_accvgpr_read_b32 v[vgprValuC+138], acc237 // copy acc to vreg[238]
v_accvgpr_read_b32 v[vgprValuC+139], acc253 // copy acc to vreg[239]
v_accvgpr_read_b32 v[vgprValuC+140], acc142 // copy acc to vreg[240]
v_accvgpr_read_b32 v[vgprValuC+141], acc158 // copy acc to vreg[241]
v_accvgpr_read_b32 v[vgprValuC+144], acc174 // copy acc to vreg[242]
v_accvgpr_read_b32 v[vgprValuC+145], acc190 // copy acc to vreg[243]
v_accvgpr_read_b32 v[vgprValuC+146], acc206 // copy acc to vreg[244]
v_accvgpr_read_b32 v[vgprValuC+147], acc222 // copy acc to vreg[245]
v_accvgpr_read_b32 v[vgprValuC+150], acc238 // copy acc to vreg[246]
v_accvgpr_read_b32 v[vgprValuC+151], acc254 // copy acc to vreg[247]
v_accvgpr_read_b32 v[vgprValuC+152], acc143 // copy acc to vreg[248]
v_accvgpr_read_b32 v[vgprValuC+153], acc159 // copy acc to vreg[249]
v_accvgpr_read_b32 v[vgprValuC+156], acc175 // copy acc to vreg[250]
v_accvgpr_read_b32 v[vgprValuC+157], acc191 // copy acc to vreg[251]
v_accvgpr_read_b32 v[vgprValuC+158], acc207 // copy acc to vreg[252]
v_accvgpr_read_b32 v[vgprValuC+159], acc223 // copy acc to vreg[253]
v_accvgpr_read_b32 v[vgprValuC+162], acc239 // copy acc to vreg[254]
v_accvgpr_read_b32 v[vgprValuC+163], acc255 // copy acc to vreg[255]
s_nop 1                                            // 2 wait states required before reading vgpr

/* rC *= alpha batchElements=[(4, 0, 15, 0), (5, 0, 0, 0), (5, 0, 1, 0), (5, 0, 2, 0), (5, 0, 3, 0), (5, 0, 4, 0), (5, 0, 5, 0), (5, 0, 6, 0), (5, 0, 7, 0), (5, 0, 8, 0), (5, 0, 9, 0), (5, 0, 10, 0), (5, 0, 11, 0), (5, 0, 12, 0), (5, 0, 13, 0), (5, 0, 14, 0), (5, 0, 15, 0), (6, 0, 0, 0), (6, 0, 1, 0), (6, 0, 2, 0), (6, 0, 3, 0), (6, 0, 4, 0), (6, 0, 5, 0), (6, 0, 6, 0), (6, 0, 7, 0), (6, 0, 8, 0), (6, 0, 9, 0), (6, 0, 10, 0), (6, 0, 11, 0), (6, 0, 12, 0), (6, 0, 13, 0), (6, 0, 14, 0), (6, 0, 15, 0), (7, 0, 0, 0), (7, 0, 1, 0), (7, 0, 2, 0), (7, 0, 3, 0), (7, 0, 4, 0), (7, 0, 5, 0), (7, 0, 6, 0), (7, 0, 7, 0), (7, 0, 8, 0), (7, 0, 9, 0), (7, 0, 10, 0), (7, 0, 11, 0), (7, 0, 12, 0), (7, 0, 13, 0), (7, 0, 14, 0), (7, 0, 15, 0)] */
v_mul_f32 v[vgprValuC+14], s[sgprAlpha], v[vgprValuC+14] // *= alpha
v_mul_f32 v[vgprValuC+15], s[sgprAlpha], v[vgprValuC+15] // *= alpha
	;; [unrolled: 1-line block ×98, first 2 shown]

/* apply mask, calc new C and issue writes */
v_mov_b32 v10, 0x207                               // flag for Nan and +/- inf
v_mov_b32 v8, 0x43700000                           // save 240.0f as max for clipping
v_mov_b32 v9, 0xC3700000                           // save -240.0f as min for clipping

s_waitcnt vmcnt(48)                                // wait C (interleaved) 48 = 49 - 0 + 0 - 1
V_cvt_pk_f32_fp8 v[6:7], v13    // convert two f8 in lo_16 to f32
_v_mac_f32 v[vgprValuC+14], v6, s[sgprBeta]        // finalSum = sum*alpha + C*beta
_v_mac_f32 v[vgprValuC+15], v7, s[sgprBeta]        // finalSum = sum*alpha + C*beta
v_cmp_class_f32 s[54:55], v[vgprValuC+14], v10     // check NaN and +/-INF
v_med3_f32 v6, v[vgprValuC+14], v8, v9             // Clipping f32 value if exceeds the limit
v_cndmask_b32 v6, v6, v[vgprValuC+14], s[54:55]    // 
v_cmp_class_f32 s[54:55], v[vgprValuC+15], v10     // check NaN and +/-INF
v_med3_f32 v7, v[vgprValuC+15], v8, v9             // Clipping f32 value if exceeds the limit
v_cndmask_b32 v7, v7, v[vgprValuC+15], s[54:55]    // 
v_cvt_pk_fp8_f32  v14, v6, v7 op_sel:[0,0,0]       // convert two f32 accumulated values to fp8 and save it to lo_16[0:15]
s_lshl_b32  s54, s[sgprStrideD1J], 0               // incToNextRow: Scale by BPE
s_add_u32  s[sgprSrdD+0], s[sgprSrdD+0], s54       // incToNextRow: gra SRD += inc(lower)
s_addc_u32  s[sgprSrdD+1], s[sgprSrdD+1], 0        // incToNextRow: gra SRD += inc(upper)
_buffer_store_b16 v14, v11, s[sgprSrdD:sgprSrdD+3], 0, offen, offset:0 // store D

s_waitcnt vmcnt(48)                                // wait C (interleaved) 48 = 49 - 1 + 1 - 1
V_cvt_pk_f32_fp8 v[6:7], v16    // convert two f8 in lo_16 to f32
_v_mac_f32 v[vgprValuC+18], v6, s[sgprBeta]        // finalSum = sum*alpha + C*beta
_v_mac_f32 v[vgprValuC+19], v7, s[sgprBeta]        // finalSum = sum*alpha + C*beta
v_cmp_class_f32 s[54:55], v[vgprValuC+18], v10     // check NaN and +/-INF
v_med3_f32 v6, v[vgprValuC+18], v8, v9             // Clipping f32 value if exceeds the limit
v_cndmask_b32 v6, v6, v[vgprValuC+18], s[54:55]    // 
v_cmp_class_f32 s[54:55], v[vgprValuC+19], v10     // check NaN and +/-INF
v_med3_f32 v7, v[vgprValuC+19], v8, v9             // Clipping f32 value if exceeds the limit
v_cndmask_b32 v7, v7, v[vgprValuC+19], s[54:55]    // 
v_cvt_pk_fp8_f32  v18, v6, v7 op_sel:[0,0,0]       // convert two f32 accumulated values to fp8 and save it to lo_16[0:15]
s_mul_i32 s54, s[sgprStrideD1J], 17                // scale StrideD *= numRows(17) * bpe
s_add_u32  s[sgprSrdD+0], s[sgprSrdD+0], s54       // incToNextRow: gra SRD += inc(lower)
s_addc_u32  s[sgprSrdD+1], s[sgprSrdD+1], 0        // incToNextRow: gra SRD += inc(upper)
_buffer_store_b16 v18, v11, s[sgprSrdD:sgprSrdD+3], 0, offen, offset:0 // store D

s_waitcnt vmcnt(48)                                // wait C (interleaved) 48 = 49 - 2 + 2 - 1
V_cvt_pk_f32_fp8 v[6:7], v17    // convert two f8 in lo_16 to f32
_v_mac_f32 v[vgprValuC+20], v6, s[sgprBeta]        // finalSum = sum*alpha + C*beta
_v_mac_f32 v[vgprValuC+21], v7, s[sgprBeta]        // finalSum = sum*alpha + C*beta
v_cmp_class_f32 s[54:55], v[vgprValuC+20], v10     // check NaN and +/-INF
v_med3_f32 v6, v[vgprValuC+20], v8, v9             // Clipping f32 value if exceeds the limit
v_cndmask_b32 v6, v6, v[vgprValuC+20], s[54:55]    // 
v_cmp_class_f32 s[54:55], v[vgprValuC+21], v10     // check NaN and +/-INF
v_med3_f32 v7, v[vgprValuC+21], v8, v9             // Clipping f32 value if exceeds the limit
v_cndmask_b32 v7, v7, v[vgprValuC+21], s[54:55]    // 
v_cvt_pk_fp8_f32  v20, v6, v7 op_sel:[0,0,0]       // convert two f32 accumulated values to fp8 and save it to lo_16[0:15]
s_lshl_b32  s54, s[sgprStrideD1J], 0               // incToNextRow: Scale by BPE
s_add_u32  s[sgprSrdD+0], s[sgprSrdD+0], s54       // incToNextRow: gra SRD += inc(lower)
s_addc_u32  s[sgprSrdD+1], s[sgprSrdD+1], 0        // incToNextRow: gra SRD += inc(upper)
_buffer_store_b16 v20, v11, s[sgprSrdD:sgprSrdD+3], 0, offen, offset:0 // store D

s_waitcnt vmcnt(48)                                // wait C (interleaved) 48 = 49 - 3 + 3 - 1
V_cvt_pk_f32_fp8 v[6:7], v22    // convert two f8 in lo_16 to f32
_v_mac_f32 v[vgprValuC+24], v6, s[sgprBeta]        // finalSum = sum*alpha + C*beta
_v_mac_f32 v[vgprValuC+25], v7, s[sgprBeta]        // finalSum = sum*alpha + C*beta
v_cmp_class_f32 s[54:55], v[vgprValuC+24], v10     // check NaN and +/-INF
v_med3_f32 v6, v[vgprValuC+24], v8, v9             // Clipping f32 value if exceeds the limit
v_cndmask_b32 v6, v6, v[vgprValuC+24], s[54:55]    // 
v_cmp_class_f32 s[54:55], v[vgprValuC+25], v10     // check NaN and +/-INF
v_med3_f32 v7, v[vgprValuC+25], v8, v9             // Clipping f32 value if exceeds the limit
v_cndmask_b32 v7, v7, v[vgprValuC+25], s[54:55]    // 
v_cvt_pk_fp8_f32  v24, v6, v7 op_sel:[0,0,0]       // convert two f32 accumulated values to fp8 and save it to lo_16[0:15]
s_lshl_b32  s54, s[sgprStrideD1J], 0               // incToNextRow: Scale by BPE
	;; [unrolled: 16-line block ×15, first 2 shown]
s_add_u32  s[sgprSrdD+0], s[sgprSrdD+0], s54       // incToNextRow: gra SRD += inc(lower)
s_addc_u32  s[sgprSrdD+1], s[sgprSrdD+1], 0        // incToNextRow: gra SRD += inc(upper)
_buffer_store_b16 v62, v11, s[sgprSrdD:sgprSrdD+3], 0, offen, offset:0 // store D

s_waitcnt vmcnt(48)                                // wait C (interleaved) 48 = 49 - 17 + 17 - 1
V_cvt_pk_f32_fp8 v[6:7], v64    // convert two f8 in lo_16 to f32
_v_mac_f32 v[vgprValuC+66], v6, s[sgprBeta]        // finalSum = sum*alpha + C*beta
_v_mac_f32 v[vgprValuC+67], v7, s[sgprBeta]        // finalSum = sum*alpha + C*beta
v_cmp_class_f32 s[54:55], v[vgprValuC+66], v10     // check NaN and +/-INF
v_med3_f32 v6, v[vgprValuC+66], v8, v9             // Clipping f32 value if exceeds the limit
v_cndmask_b32 v6, v6, v[vgprValuC+66], s[54:55]    // 
v_cmp_class_f32 s[54:55], v[vgprValuC+67], v10     // check NaN and +/-INF
v_med3_f32 v7, v[vgprValuC+67], v8, v9             // Clipping f32 value if exceeds the limit
v_cndmask_b32 v7, v7, v[vgprValuC+67], s[54:55]    // 
v_cvt_pk_fp8_f32  v66, v6, v7 op_sel:[0,0,0]       // convert two f32 accumulated values to fp8 and save it to lo_16[0:15]
s_mul_i32 s54, s[sgprStrideD1J], 17                // scale StrideD *= numRows(17) * bpe
s_add_u32  s[sgprSrdD+0], s[sgprSrdD+0], s54       // incToNextRow: gra SRD += inc(lower)
s_addc_u32  s[sgprSrdD+1], s[sgprSrdD+1], 0        // incToNextRow: gra SRD += inc(upper)
_buffer_store_b16 v66, v11, s[sgprSrdD:sgprSrdD+3], 0, offen, offset:0 // store D

s_waitcnt vmcnt(48)                                // wait C (interleaved) 48 = 49 - 18 + 18 - 1
V_cvt_pk_f32_fp8 v[6:7], v65    // convert two f8 in lo_16 to f32
_v_mac_f32 v[vgprValuC+68], v6, s[sgprBeta]        // finalSum = sum*alpha + C*beta
_v_mac_f32 v[vgprValuC+69], v7, s[sgprBeta]        // finalSum = sum*alpha + C*beta
v_cmp_class_f32 s[54:55], v[vgprValuC+68], v10     // check NaN and +/-INF
v_med3_f32 v6, v[vgprValuC+68], v8, v9             // Clipping f32 value if exceeds the limit
v_cndmask_b32 v6, v6, v[vgprValuC+68], s[54:55]    // 
v_cmp_class_f32 s[54:55], v[vgprValuC+69], v10     // check NaN and +/-INF
v_med3_f32 v7, v[vgprValuC+69], v8, v9             // Clipping f32 value if exceeds the limit
v_cndmask_b32 v7, v7, v[vgprValuC+69], s[54:55]    // 
v_cvt_pk_fp8_f32  v68, v6, v7 op_sel:[0,0,0]       // convert two f32 accumulated values to fp8 and save it to lo_16[0:15]
s_lshl_b32  s54, s[sgprStrideD1J], 0               // incToNextRow: Scale by BPE
s_add_u32  s[sgprSrdD+0], s[sgprSrdD+0], s54       // incToNextRow: gra SRD += inc(lower)
s_addc_u32  s[sgprSrdD+1], s[sgprSrdD+1], 0        // incToNextRow: gra SRD += inc(upper)
_buffer_store_b16 v68, v11, s[sgprSrdD:sgprSrdD+3], 0, offen, offset:0 // store D

s_waitcnt vmcnt(48)                                // wait C (interleaved) 48 = 49 - 19 + 19 - 1
V_cvt_pk_f32_fp8 v[6:7], v70    // convert two f8 in lo_16 to f32
_v_mac_f32 v[vgprValuC+72], v6, s[sgprBeta]        // finalSum = sum*alpha + C*beta
_v_mac_f32 v[vgprValuC+73], v7, s[sgprBeta]        // finalSum = sum*alpha + C*beta
v_cmp_class_f32 s[54:55], v[vgprValuC+72], v10     // check NaN and +/-INF
v_med3_f32 v6, v[vgprValuC+72], v8, v9             // Clipping f32 value if exceeds the limit
v_cndmask_b32 v6, v6, v[vgprValuC+72], s[54:55]    // 
v_cmp_class_f32 s[54:55], v[vgprValuC+73], v10     // check NaN and +/-INF
v_med3_f32 v7, v[vgprValuC+73], v8, v9             // Clipping f32 value if exceeds the limit
v_cndmask_b32 v7, v7, v[vgprValuC+73], s[54:55]    // 
v_cvt_pk_fp8_f32  v72, v6, v7 op_sel:[0,0,0]       // convert two f32 accumulated values to fp8 and save it to lo_16[0:15]
s_lshl_b32  s54, s[sgprStrideD1J], 0               // incToNextRow: Scale by BPE
	;; [unrolled: 16-line block ×11, first 2 shown]
s_add_u32  s[sgprSrdD+0], s[sgprSrdD+0], s54       // incToNextRow: gra SRD += inc(lower)
s_addc_u32  s[sgprSrdD+1], s[sgprSrdD+1], 0        // incToNextRow: gra SRD += inc(upper)
_buffer_store_b16 v98, v11, s[sgprSrdD:sgprSrdD+3], 0, offen, offset:0 // store D

s_waitcnt vmcnt(48)                                // wait C (interleaved) 48 = 49 - 29 + 29 - 1
V_cvt_pk_f32_fp8 v[6:7], v100    // convert two f8 in lo_16 to f32
_v_mac_f32 v[vgprValuC+102], v6, s[sgprBeta]       // finalSum = sum*alpha + C*beta
_v_mac_f32 v[vgprValuC+103], v7, s[sgprBeta]       // finalSum = sum*alpha + C*beta
v_cmp_class_f32 s[54:55], v[vgprValuC+102], v10    // check NaN and +/-INF
v_med3_f32 v6, v[vgprValuC+102], v8, v9            // Clipping f32 value if exceeds the limit
v_cndmask_b32 v6, v6, v[vgprValuC+102], s[54:55]   // 
v_cmp_class_f32 s[54:55], v[vgprValuC+103], v10    // check NaN and +/-INF
v_med3_f32 v7, v[vgprValuC+103], v8, v9            // Clipping f32 value if exceeds the limit
v_cndmask_b32 v7, v7, v[vgprValuC+103], s[54:55]   // 
v_cvt_pk_fp8_f32  v102, v6, v7 op_sel:[0,0,0]      // convert two f32 accumulated values to fp8 and save it to lo_16[0:15]
s_lshl_b32  s54, s[sgprStrideD1J], 0               // incToNextRow: Scale by BPE
s_add_u32  s[sgprSrdD+0], s[sgprSrdD+0], s54       // incToNextRow: gra SRD += inc(lower)
s_addc_u32  s[sgprSrdD+1], s[sgprSrdD+1], 0        // incToNextRow: gra SRD += inc(upper)
_buffer_store_b16 v102, v11, s[sgprSrdD:sgprSrdD+3], 0, offen, offset:0 // store D

s_waitcnt vmcnt(48)                                // wait C (interleaved) 48 = 49 - 30 + 30 - 1
V_cvt_pk_f32_fp8 v[6:7], v101    // convert two f8 in lo_16 to f32
_v_mac_f32 v[vgprValuC+104], v6, s[sgprBeta]       // finalSum = sum*alpha + C*beta
_v_mac_f32 v[vgprValuC+105], v7, s[sgprBeta]       // finalSum = sum*alpha + C*beta
v_cmp_class_f32 s[54:55], v[vgprValuC+104], v10    // check NaN and +/-INF
v_med3_f32 v6, v[vgprValuC+104], v8, v9            // Clipping f32 value if exceeds the limit
v_cndmask_b32 v6, v6, v[vgprValuC+104], s[54:55]   // 
v_cmp_class_f32 s[54:55], v[vgprValuC+105], v10    // check NaN and +/-INF
v_med3_f32 v7, v[vgprValuC+105], v8, v9            // Clipping f32 value if exceeds the limit
v_cndmask_b32 v7, v7, v[vgprValuC+105], s[54:55]   // 
v_cvt_pk_fp8_f32  v104, v6, v7 op_sel:[0,0,0]      // convert two f32 accumulated values to fp8 and save it to lo_16[0:15]
s_lshl_b32  s54, s[sgprStrideD1J], 0               // incToNextRow: Scale by BPE
	;; [unrolled: 16-line block ×4, first 2 shown]
s_add_u32  s[sgprSrdD+0], s[sgprSrdD+0], s54       // incToNextRow: gra SRD += inc(lower)
s_addc_u32  s[sgprSrdD+1], s[sgprSrdD+1], 0        // incToNextRow: gra SRD += inc(upper)
_buffer_store_b16 v110, v11, s[sgprSrdD:sgprSrdD+3], 0, offen, offset:0 // store D

s_waitcnt vmcnt(48)                                // wait C (interleaved) 48 = 49 - 33 + 33 - 1
V_cvt_pk_f32_fp8 v[6:7], v112    // convert two f8 in lo_16 to f32
_v_mac_f32 v[vgprValuC+114], v6, s[sgprBeta]       // finalSum = sum*alpha + C*beta
_v_mac_f32 v[vgprValuC+115], v7, s[sgprBeta]       // finalSum = sum*alpha + C*beta
v_cmp_class_f32 s[54:55], v[vgprValuC+114], v10    // check NaN and +/-INF
v_med3_f32 v6, v[vgprValuC+114], v8, v9            // Clipping f32 value if exceeds the limit
v_cndmask_b32 v6, v6, v[vgprValuC+114], s[54:55]   // 
v_cmp_class_f32 s[54:55], v[vgprValuC+115], v10    // check NaN and +/-INF
v_med3_f32 v7, v[vgprValuC+115], v8, v9            // Clipping f32 value if exceeds the limit
v_cndmask_b32 v7, v7, v[vgprValuC+115], s[54:55]   // 
v_cvt_pk_fp8_f32  v114, v6, v7 op_sel:[0,0,0]      // convert two f32 accumulated values to fp8 and save it to lo_16[0:15]
s_mul_i32 s54, s[sgprStrideD1J], 17                // scale StrideD *= numRows(17) * bpe
s_add_u32  s[sgprSrdD+0], s[sgprSrdD+0], s54       // incToNextRow: gra SRD += inc(lower)
s_addc_u32  s[sgprSrdD+1], s[sgprSrdD+1], 0        // incToNextRow: gra SRD += inc(upper)
_buffer_store_b16 v114, v11, s[sgprSrdD:sgprSrdD+3], 0, offen, offset:0 // store D

s_waitcnt vmcnt(48)                                // wait C (interleaved) 48 = 49 - 34 + 34 - 1
V_cvt_pk_f32_fp8 v[6:7], v113    // convert two f8 in lo_16 to f32
_v_mac_f32 v[vgprValuC+120], v6, s[sgprBeta]       // finalSum = sum*alpha + C*beta
_v_mac_f32 v[vgprValuC+121], v7, s[sgprBeta]       // finalSum = sum*alpha + C*beta
v_cmp_class_f32 s[54:55], v[vgprValuC+120], v10    // check NaN and +/-INF
v_med3_f32 v6, v[vgprValuC+120], v8, v9            // Clipping f32 value if exceeds the limit
v_cndmask_b32 v6, v6, v[vgprValuC+120], s[54:55]   // 
v_cmp_class_f32 s[54:55], v[vgprValuC+121], v10    // check NaN and +/-INF
v_med3_f32 v7, v[vgprValuC+121], v8, v9            // Clipping f32 value if exceeds the limit
v_cndmask_b32 v7, v7, v[vgprValuC+121], s[54:55]   // 
v_cvt_pk_fp8_f32  v120, v6, v7 op_sel:[0,0,0]      // convert two f32 accumulated values to fp8 and save it to lo_16[0:15]
s_lshl_b32  s54, s[sgprStrideD1J], 0               // incToNextRow: Scale by BPE
s_add_u32  s[sgprSrdD+0], s[sgprSrdD+0], s54       // incToNextRow: gra SRD += inc(lower)
s_addc_u32  s[sgprSrdD+1], s[sgprSrdD+1], 0        // incToNextRow: gra SRD += inc(upper)
_buffer_store_b16 v120, v11, s[sgprSrdD:sgprSrdD+3], 0, offen, offset:0 // store D

s_waitcnt vmcnt(48)                                // wait C (interleaved) 48 = 49 - 35 + 35 - 1
V_cvt_pk_f32_fp8 v[6:7], v119    // convert two f8 in lo_16 to f32
_v_mac_f32 v[vgprValuC+122], v6, s[sgprBeta]       // finalSum = sum*alpha + C*beta
_v_mac_f32 v[vgprValuC+123], v7, s[sgprBeta]       // finalSum = sum*alpha + C*beta
v_cmp_class_f32 s[54:55], v[vgprValuC+122], v10    // check NaN and +/-INF
v_med3_f32 v6, v[vgprValuC+122], v8, v9            // Clipping f32 value if exceeds the limit
v_cndmask_b32 v6, v6, v[vgprValuC+122], s[54:55]   // 
v_cmp_class_f32 s[54:55], v[vgprValuC+123], v10    // check NaN and +/-INF
v_med3_f32 v7, v[vgprValuC+123], v8, v9            // Clipping f32 value if exceeds the limit
v_cndmask_b32 v7, v7, v[vgprValuC+123], s[54:55]   // 
v_cvt_pk_fp8_f32  v122, v6, v7 op_sel:[0,0,0]      // convert two f32 accumulated values to fp8 and save it to lo_16[0:15]
s_lshl_b32  s54, s[sgprStrideD1J], 0               // incToNextRow: Scale by BPE
	;; [unrolled: 16-line block ×15, first 2 shown]
s_add_u32  s[sgprSrdD+0], s[sgprSrdD+0], s54       // incToNextRow: gra SRD += inc(lower)
s_addc_u32  s[sgprSrdD+1], s[sgprSrdD+1], 0        // incToNextRow: gra SRD += inc(upper)
_buffer_store_b16 v162, v11, s[sgprSrdD:sgprSrdD+3], 0, offen, offset:0 // store D
s_nop 0                                            // 1 wait state required when next inst writes vgprs held by previous dwordx4 store inst
s_branch label_GW_End_44                           // jump to end
GW_B1_E1_43:

/* edge=1, allocate 6 sgpr. perBatchTmpS=4 perBatchMaskS=2 perElementMaskS=0 elementsPerBatch=80 */
/* optSingleColVgpr=0 optSharedColVgpr=0 optSGPRUsage=BufferLoad_Edge_Mask optSrdIncForRow=0 */

/******************************************/
/* Global Write Alpha Beta Edge Batch #0 (d1,d0,vc1,vc0) = */
/*    (0,0,0,0:vw1); (0,0,0,1:vw1); (0,0,1,0:vw1); (0,0,1,1:vw1); (0,0,2,0:vw1); (0,0,2,1:vw1); (0,0,3,0:vw1); (0,0,3,1:vw1); (0,0,4,0:vw1); (0,0,4,1:vw1); (0,0,5,0:vw1); (0,0,5,1:vw1); (0,0,6,0:vw1); (0,0,6,1:vw1); (0,0,7,0:vw1); (0,0,7,1:vw1); (0,0,8,0:vw1); (0,0,8,1:vw1); (0,0,9,0:vw1); (0,0,9,1:vw1); (0,0,10,0:vw1); (0,0,10,1:vw1); (0,0,11,0:vw1); (0,0,11,1:vw1); (0,0,12,0:vw1); (0,0,12,1:vw1); (0,0,13,0:vw1); (0,0,13,1:vw1); (0,0,14,0:vw1); (0,0,14,1:vw1); (0,0,15,0:vw1); (0,0,15,1:vw1); (1,0,0,0:vw1); (1,0,0,1:vw1); (1,0,1,0:vw1); (1,0,1,1:vw1); (1,0,2,0:vw1); (1,0,2,1:vw1); (1,0,3,0:vw1); (1,0,3,1:vw1); (1,0,4,0:vw1); (1,0,4,1:vw1); (1,0,5,0:vw1); (1,0,5,1:vw1); (1,0,6,0:vw1); (1,0,6,1:vw1); (1,0,7,0:vw1); (1,0,7,1:vw1); (1,0,8,0:vw1); (1,0,8,1:vw1); (1,0,9,0:vw1); (1,0,9,1:vw1); (1,0,10,0:vw1); (1,0,10,1:vw1); (1,0,11,0:vw1); (1,0,11,1:vw1); (1,0,12,0:vw1); (1,0,12,1:vw1); (1,0,13,0:vw1); (1,0,13,1:vw1); (1,0,14,0:vw1); (1,0,14,1:vw1); (1,0,15,0:vw1); (1,0,15,1:vw1); (2,0,0,0:vw1); (2,0,0,1:vw1); (2,0,1,0:vw1); (2,0,1,1:vw1); (2,0,2,0:vw1); (2,0,2,1:vw1); (2,0,3,0:vw1); (2,0,3,1:vw1); (2,0,4,0:vw1); (2,0,4,1:vw1); (2,0,5,0:vw1); (2,0,5,1:vw1); (2,0,6,0:vw1); (2,0,6,1:vw1); (2,0,7,0:vw1); (2,0,7,1:vw1) */
/******************************************/

/* calc coords, apply mask, and issue loads (if necessary) */
/* (d1,vc1,d0,vc0)=(0,0,0,0) */
v_cmp_lt_u32 s[54:55], v0, s[sgprSizeI]            // coord0 < size0
v_cmp_lt_u32 s[58:59], v1, s[sgprSizeJ]            // coord1 < size1
s_and_b64 s[58:59], s[54:55], s[58:59]             // in0 && in1
_v_add_lshl_u32 v11, v2, v0, 0x0                   // scaleToBpe: accumulate d0 lower and *= bpe into Cin addr
v_cndmask_b32 v11, -1, v11, s[58:59]               // LDC clip if OOB. offset
buffer_load_ubyte v12, v11, s[sgprSrdC:sgprSrdC+3], 0, offen offset:0 // load C for beta calc
_v_add_lshl_u32 v11, v3, v0, 0x0                   // scaleToBpe: accumulate d0 lower and *= bpe into Cin addr
v_cndmask_b32 v11, -1, v11, s[58:59]               // LDD clip if OOB. offset
/* (d1,vc1,d0,vc0)=(0,0,0,1) */
_v_add_co_u32 v4, vcc, v0, 1                       // coord0.1: coord0 += d0*sg0*VW + vc0
v_cmp_lt_u32 s[54:55], v4, s[sgprSizeI]            // coord0 < size0
v_cmp_lt_u32 s[58:59], v1, s[sgprSizeJ]            // coord1 < size1
s_and_b64 s[58:59], s[54:55], s[58:59]             // in0 && in1
_v_add_lshl_u32 v14, v2, v4, 0x0                   // scaleToBpe: accumulate d0 lower and *= bpe into Cin addr
v_cndmask_b32 v14, -1, v14, s[58:59]               // LDC clip if OOB. offset
buffer_load_ubyte v15, v14, s[sgprSrdC:sgprSrdC+3], 0, offen offset:0 // load C for beta calc
_v_add_lshl_u32 v14, v3, v4, 0x0                   // scaleToBpe: accumulate d0 lower and *= bpe into Cin addr
v_cndmask_b32 v14, -1, v14, s[58:59]               // LDD clip if OOB. offset
/* (d1,vc1,d0,vc0)=(0,1,0,0) */
_v_add_co_u32 v1, vcc, v1, 1                       // coord1.1: coord1Vgpr += d1*sg1*VW + vc1

/* Fix for UseInitialStridesCD, emitAddressSetupCode */
_v_add_u32 v2, v2, s[sgprStrideC1J]                // ROWINC- Move cinRowPtr to next row
_v_add_u32 v3, v3, s[sgprStrideD1J]                // Move coutRowPtr to next row
v_cmp_lt_u32 s[54:55], v0, s[sgprSizeI]            // coord0 < size0
v_cmp_lt_u32 s[58:59], v1, s[sgprSizeJ]            // coord1 < size1
s_and_b64 s[58:59], s[54:55], s[58:59]             // in0 && in1
_v_add_lshl_u32 v17, v2, v0, 0x0                   // scaleToBpe: accumulate d0 lower and *= bpe into Cin addr
v_cndmask_b32 v17, -1, v17, s[58:59]               // LDC clip if OOB. offset
buffer_load_ubyte v18, v17, s[sgprSrdC:sgprSrdC+3], 0, offen offset:0 // load C for beta calc
_v_add_lshl_u32 v17, v3, v0, 0x0                   // scaleToBpe: accumulate d0 lower and *= bpe into Cin addr
v_cndmask_b32 v17, -1, v17, s[58:59]               // LDD clip if OOB. offset
/* (d1,vc1,d0,vc0)=(0,1,0,1) */
_v_add_co_u32 v4, vcc, v0, 1                       // coord0.1: coord0 += d0*sg0*VW + vc0
v_cmp_lt_u32 s[54:55], v4, s[sgprSizeI]            // coord0 < size0
v_cmp_lt_u32 s[58:59], v1, s[sgprSizeJ]            // coord1 < size1
s_and_b64 s[58:59], s[54:55], s[58:59]             // in0 && in1
_v_add_lshl_u32 v20, v2, v4, 0x0                   // scaleToBpe: accumulate d0 lower and *= bpe into Cin addr
v_cndmask_b32 v20, -1, v20, s[58:59]               // LDC clip if OOB. offset
buffer_load_ubyte v21, v20, s[sgprSrdC:sgprSrdC+3], 0, offen offset:0 // load C for beta calc
_v_add_lshl_u32 v20, v3, v4, 0x0                   // scaleToBpe: accumulate d0 lower and *= bpe into Cin addr
v_cndmask_b32 v20, -1, v20, s[58:59]               // LDD clip if OOB. offset
/* (d1,vc1,d0,vc0)=(0,2,0,0) */
_v_add_co_u32 v1, vcc, v1, 1                       // coord1.1: coord1Vgpr += d1*sg1*VW + vc1

/* Fix for UseInitialStridesCD, emitAddressSetupCode */
_v_add_u32 v2, v2, s[sgprStrideC1J]                // ROWINC- Move cinRowPtr to next row
_v_add_u32 v3, v3, s[sgprStrideD1J]                // Move coutRowPtr to next row
	;; [unrolled: 24-line block ×15, first 2 shown]
v_cmp_lt_u32 s[54:55], v0, s[sgprSizeI]            // coord0 < size0
v_cmp_lt_u32 s[58:59], v1, s[sgprSizeJ]            // coord1 < size1
s_and_b64 s[58:59], s[54:55], s[58:59]             // in0 && in1
_v_add_lshl_u32 v101, v2, v0, 0x0                  // scaleToBpe: accumulate d0 lower and *= bpe into Cin addr
v_cndmask_b32 v101, -1, v101, s[58:59]             // LDC clip if OOB. offset
buffer_load_ubyte v102, v101, s[sgprSrdC:sgprSrdC+3], 0, offen offset:0 // load C for beta calc
_v_add_lshl_u32 v101, v3, v0, 0x0                  // scaleToBpe: accumulate d0 lower and *= bpe into Cin addr
v_cndmask_b32 v101, -1, v101, s[58:59]             // LDD clip if OOB. offset
/* (d1,vc1,d0,vc0)=(0,15,0,1) */
_v_add_co_u32 v4, vcc, v0, 1                       // coord0.1: coord0 += d0*sg0*VW + vc0
v_cmp_lt_u32 s[54:55], v4, s[sgprSizeI]            // coord0 < size0
v_cmp_lt_u32 s[58:59], v1, s[sgprSizeJ]            // coord1 < size1
s_and_b64 s[58:59], s[54:55], s[58:59]             // in0 && in1
_v_add_lshl_u32 v104, v2, v4, 0x0                  // scaleToBpe: accumulate d0 lower and *= bpe into Cin addr
v_cndmask_b32 v104, -1, v104, s[58:59]             // LDC clip if OOB. offset
buffer_load_ubyte v105, v104, s[sgprSrdC:sgprSrdC+3], 0, offen offset:0 // load C for beta calc
_v_add_lshl_u32 v104, v3, v4, 0x0                  // scaleToBpe: accumulate d0 lower and *= bpe into Cin addr
v_cndmask_b32 v104, -1, v104, s[58:59]             // LDD clip if OOB. offset
/* (d1,vc1,d0,vc0)=(1,0,0,0) */
_v_add_co_u32 v1, vcc, v1, 17                      // coord1.1: coord1Vgpr += d1*sg1*VW + vc1

/* Fix for UseInitialStridesCD, emitAddressSetupCode */
s_mul_i32 s54, s[sgprStrideC1J], 17                // scale stride
_v_add_u32 v2, v2, s54                             // ROWINC- Move cinRowPtr to next row
s_mul_i32 s54, s[sgprStrideD1J], 17                // scale stride
_v_add_u32 v3, v3, s54                             // Move coutRowPtr to next row
v_cmp_lt_u32 s[54:55], v0, s[sgprSizeI]            // coord0 < size0
v_cmp_lt_u32 s[58:59], v1, s[sgprSizeJ]            // coord1 < size1
s_and_b64 s[58:59], s[54:55], s[58:59]             // in0 && in1
_v_add_lshl_u32 v107, v2, v0, 0x0                  // scaleToBpe: accumulate d0 lower and *= bpe into Cin addr
v_cndmask_b32 v107, -1, v107, s[58:59]             // LDC clip if OOB. offset
buffer_load_ubyte v108, v107, s[sgprSrdC:sgprSrdC+3], 0, offen offset:0 // load C for beta calc
_v_add_lshl_u32 v107, v3, v0, 0x0                  // scaleToBpe: accumulate d0 lower and *= bpe into Cin addr
v_cndmask_b32 v107, -1, v107, s[58:59]             // LDD clip if OOB. offset
/* (d1,vc1,d0,vc0)=(1,0,0,1) */
_v_add_co_u32 v4, vcc, v0, 1                       // coord0.1: coord0 += d0*sg0*VW + vc0
v_cmp_lt_u32 s[54:55], v4, s[sgprSizeI]            // coord0 < size0
v_cmp_lt_u32 s[58:59], v1, s[sgprSizeJ]            // coord1 < size1
s_and_b64 s[58:59], s[54:55], s[58:59]             // in0 && in1
_v_add_lshl_u32 v110, v2, v4, 0x0                  // scaleToBpe: accumulate d0 lower and *= bpe into Cin addr
v_cndmask_b32 v110, -1, v110, s[58:59]             // LDC clip if OOB. offset
buffer_load_ubyte v111, v110, s[sgprSrdC:sgprSrdC+3], 0, offen offset:0 // load C for beta calc
_v_add_lshl_u32 v110, v3, v4, 0x0                  // scaleToBpe: accumulate d0 lower and *= bpe into Cin addr
v_cndmask_b32 v110, -1, v110, s[58:59]             // LDD clip if OOB. offset
/* (d1,vc1,d0,vc0)=(1,1,0,0) */
_v_add_co_u32 v1, vcc, v1, 1                       // coord1.1: coord1Vgpr += d1*sg1*VW + vc1

/* Fix for UseInitialStridesCD, emitAddressSetupCode */
_v_add_u32 v2, v2, s[sgprStrideC1J]                // ROWINC- Move cinRowPtr to next row
_v_add_u32 v3, v3, s[sgprStrideD1J]                // Move coutRowPtr to next row
v_cmp_lt_u32 s[54:55], v0, s[sgprSizeI]            // coord0 < size0
v_cmp_lt_u32 s[58:59], v1, s[sgprSizeJ]            // coord1 < size1
s_and_b64 s[58:59], s[54:55], s[58:59]             // in0 && in1
_v_add_lshl_u32 v113, v2, v0, 0x0                  // scaleToBpe: accumulate d0 lower and *= bpe into Cin addr
v_cndmask_b32 v113, -1, v113, s[58:59]             // LDC clip if OOB. offset
buffer_load_ubyte v114, v113, s[sgprSrdC:sgprSrdC+3], 0, offen offset:0 // load C for beta calc
_v_add_lshl_u32 v113, v3, v0, 0x0                  // scaleToBpe: accumulate d0 lower and *= bpe into Cin addr
v_cndmask_b32 v113, -1, v113, s[58:59]             // LDD clip if OOB. offset
/* (d1,vc1,d0,vc0)=(1,1,0,1) */
_v_add_co_u32 v4, vcc, v0, 1                       // coord0.1: coord0 += d0*sg0*VW + vc0
v_cmp_lt_u32 s[54:55], v4, s[sgprSizeI]            // coord0 < size0
v_cmp_lt_u32 s[58:59], v1, s[sgprSizeJ]            // coord1 < size1
s_and_b64 s[58:59], s[54:55], s[58:59]             // in0 && in1
_v_add_lshl_u32 v119, v2, v4, 0x0                  // scaleToBpe: accumulate d0 lower and *= bpe into Cin addr
v_cndmask_b32 v119, -1, v119, s[58:59]             // LDC clip if OOB. offset
buffer_load_ubyte v120, v119, s[sgprSrdC:sgprSrdC+3], 0, offen offset:0 // load C for beta calc
_v_add_lshl_u32 v119, v3, v4, 0x0                  // scaleToBpe: accumulate d0 lower and *= bpe into Cin addr
v_cndmask_b32 v119, -1, v119, s[58:59]             // LDD clip if OOB. offset
/* (d1,vc1,d0,vc0)=(1,2,0,0) */
_v_add_co_u32 v1, vcc, v1, 1                       // coord1.1: coord1Vgpr += d1*sg1*VW + vc1

/* Fix for UseInitialStridesCD, emitAddressSetupCode */
_v_add_u32 v2, v2, s[sgprStrideC1J]                // ROWINC- Move cinRowPtr to next row
_v_add_u32 v3, v3, s[sgprStrideD1J]                // Move coutRowPtr to next row
	;; [unrolled: 24-line block ×15, first 2 shown]
v_cmp_lt_u32 s[54:55], v0, s[sgprSizeI]            // coord0 < size0
v_cmp_lt_u32 s[58:59], v1, s[sgprSizeJ]            // coord1 < size1
s_and_b64 s[58:59], s[54:55], s[58:59]             // in0 && in1
_v_add_lshl_u32 v200, v2, v0, 0x0                  // scaleToBpe: accumulate d0 lower and *= bpe into Cin addr
v_cndmask_b32 v200, -1, v200, s[58:59]             // LDC clip if OOB. offset
buffer_load_ubyte v201, v200, s[sgprSrdC:sgprSrdC+3], 0, offen offset:0 // load C for beta calc
_v_add_lshl_u32 v200, v3, v0, 0x0                  // scaleToBpe: accumulate d0 lower and *= bpe into Cin addr
v_cndmask_b32 v200, -1, v200, s[58:59]             // LDD clip if OOB. offset
/* (d1,vc1,d0,vc0)=(1,15,0,1) */
_v_add_co_u32 v4, vcc, v0, 1                       // coord0.1: coord0 += d0*sg0*VW + vc0
v_cmp_lt_u32 s[54:55], v4, s[sgprSizeI]            // coord0 < size0
v_cmp_lt_u32 s[58:59], v1, s[sgprSizeJ]            // coord1 < size1
s_and_b64 s[58:59], s[54:55], s[58:59]             // in0 && in1
_v_add_lshl_u32 v203, v2, v4, 0x0                  // scaleToBpe: accumulate d0 lower and *= bpe into Cin addr
v_cndmask_b32 v203, -1, v203, s[58:59]             // LDC clip if OOB. offset
buffer_load_ubyte v204, v203, s[sgprSrdC:sgprSrdC+3], 0, offen offset:0 // load C for beta calc
_v_add_lshl_u32 v203, v3, v4, 0x0                  // scaleToBpe: accumulate d0 lower and *= bpe into Cin addr
v_cndmask_b32 v203, -1, v203, s[58:59]             // LDD clip if OOB. offset
/* (d1,vc1,d0,vc0)=(2,0,0,0) */
_v_add_co_u32 v1, vcc, v1, 17                      // coord1.1: coord1Vgpr += d1*sg1*VW + vc1

/* Fix for UseInitialStridesCD, emitAddressSetupCode */
s_mul_i32 s54, s[sgprStrideC1J], 17                // scale stride
_v_add_u32 v2, v2, s54                             // ROWINC- Move cinRowPtr to next row
s_mul_i32 s54, s[sgprStrideD1J], 17                // scale stride
_v_add_u32 v3, v3, s54                             // Move coutRowPtr to next row
v_cmp_lt_u32 s[54:55], v0, s[sgprSizeI]            // coord0 < size0
v_cmp_lt_u32 s[58:59], v1, s[sgprSizeJ]            // coord1 < size1
s_and_b64 s[58:59], s[54:55], s[58:59]             // in0 && in1
_v_add_lshl_u32 v206, v2, v0, 0x0                  // scaleToBpe: accumulate d0 lower and *= bpe into Cin addr
v_cndmask_b32 v206, -1, v206, s[58:59]             // LDC clip if OOB. offset
buffer_load_ubyte v207, v206, s[sgprSrdC:sgprSrdC+3], 0, offen offset:0 // load C for beta calc
_v_add_lshl_u32 v206, v3, v0, 0x0                  // scaleToBpe: accumulate d0 lower and *= bpe into Cin addr
v_cndmask_b32 v206, -1, v206, s[58:59]             // LDD clip if OOB. offset
/* (d1,vc1,d0,vc0)=(2,0,0,1) */
_v_add_co_u32 v4, vcc, v0, 1                       // coord0.1: coord0 += d0*sg0*VW + vc0
v_cmp_lt_u32 s[54:55], v4, s[sgprSizeI]            // coord0 < size0
v_cmp_lt_u32 s[58:59], v1, s[sgprSizeJ]            // coord1 < size1
s_and_b64 s[58:59], s[54:55], s[58:59]             // in0 && in1
_v_add_lshl_u32 v209, v2, v4, 0x0                  // scaleToBpe: accumulate d0 lower and *= bpe into Cin addr
v_cndmask_b32 v209, -1, v209, s[58:59]             // LDC clip if OOB. offset
buffer_load_ubyte v210, v209, s[sgprSrdC:sgprSrdC+3], 0, offen offset:0 // load C for beta calc
_v_add_lshl_u32 v209, v3, v4, 0x0                  // scaleToBpe: accumulate d0 lower and *= bpe into Cin addr
v_cndmask_b32 v209, -1, v209, s[58:59]             // LDD clip if OOB. offset
/* (d1,vc1,d0,vc0)=(2,1,0,0) */
_v_add_co_u32 v1, vcc, v1, 1                       // coord1.1: coord1Vgpr += d1*sg1*VW + vc1

/* Fix for UseInitialStridesCD, emitAddressSetupCode */
_v_add_u32 v2, v2, s[sgprStrideC1J]                // ROWINC- Move cinRowPtr to next row
_v_add_u32 v3, v3, s[sgprStrideD1J]                // Move coutRowPtr to next row
v_cmp_lt_u32 s[54:55], v0, s[sgprSizeI]            // coord0 < size0
v_cmp_lt_u32 s[58:59], v1, s[sgprSizeJ]            // coord1 < size1
s_and_b64 s[58:59], s[54:55], s[58:59]             // in0 && in1
_v_add_lshl_u32 v212, v2, v0, 0x0                  // scaleToBpe: accumulate d0 lower and *= bpe into Cin addr
v_cndmask_b32 v212, -1, v212, s[58:59]             // LDC clip if OOB. offset
buffer_load_ubyte v213, v212, s[sgprSrdC:sgprSrdC+3], 0, offen offset:0 // load C for beta calc
_v_add_lshl_u32 v212, v3, v0, 0x0                  // scaleToBpe: accumulate d0 lower and *= bpe into Cin addr
v_cndmask_b32 v212, -1, v212, s[58:59]             // LDD clip if OOB. offset
/* (d1,vc1,d0,vc0)=(2,1,0,1) */
_v_add_co_u32 v4, vcc, v0, 1                       // coord0.1: coord0 += d0*sg0*VW + vc0
v_cmp_lt_u32 s[54:55], v4, s[sgprSizeI]            // coord0 < size0
v_cmp_lt_u32 s[58:59], v1, s[sgprSizeJ]            // coord1 < size1
s_and_b64 s[58:59], s[54:55], s[58:59]             // in0 && in1
_v_add_lshl_u32 v215, v2, v4, 0x0                  // scaleToBpe: accumulate d0 lower and *= bpe into Cin addr
v_cndmask_b32 v215, -1, v215, s[58:59]             // LDC clip if OOB. offset
buffer_load_ubyte v216, v215, s[sgprSrdC:sgprSrdC+3], 0, offen offset:0 // load C for beta calc
_v_add_lshl_u32 v215, v3, v4, 0x0                  // scaleToBpe: accumulate d0 lower and *= bpe into Cin addr
v_cndmask_b32 v215, -1, v215, s[58:59]             // LDD clip if OOB. offset
/* (d1,vc1,d0,vc0)=(2,2,0,0) */
_v_add_co_u32 v1, vcc, v1, 1                       // coord1.1: coord1Vgpr += d1*sg1*VW + vc1

/* Fix for UseInitialStridesCD, emitAddressSetupCode */
_v_add_u32 v2, v2, s[sgprStrideC1J]                // ROWINC- Move cinRowPtr to next row
_v_add_u32 v3, v3, s[sgprStrideD1J]                // Move coutRowPtr to next row
	;; [unrolled: 24-line block ×7, first 2 shown]
v_cmp_lt_u32 s[54:55], v0, s[sgprSizeI]            // coord0 < size0
v_cmp_lt_u32 s[58:59], v1, s[sgprSizeJ]            // coord1 < size1
s_and_b64 s[58:59], s[54:55], s[58:59]             // in0 && in1
_v_add_lshl_u32 v248, v2, v0, 0x0                  // scaleToBpe: accumulate d0 lower and *= bpe into Cin addr
v_cndmask_b32 v248, -1, v248, s[58:59]             // LDC clip if OOB. offset
buffer_load_ubyte v249, v248, s[sgprSrdC:sgprSrdC+3], 0, offen offset:0 // load C for beta calc
_v_add_lshl_u32 v248, v3, v0, 0x0                  // scaleToBpe: accumulate d0 lower and *= bpe into Cin addr
v_cndmask_b32 v248, -1, v248, s[58:59]             // LDD clip if OOB. offset
/* (d1,vc1,d0,vc0)=(2,7,0,1) */
_v_add_co_u32 v4, vcc, v0, 1                       // coord0.1: coord0 += d0*sg0*VW + vc0
v_cmp_lt_u32 s[54:55], v4, s[sgprSizeI]            // coord0 < size0
v_cmp_lt_u32 s[58:59], v1, s[sgprSizeJ]            // coord1 < size1
s_and_b64 s[58:59], s[54:55], s[58:59]             // in0 && in1
_v_add_lshl_u32 v251, v2, v4, 0x0                  // scaleToBpe: accumulate d0 lower and *= bpe into Cin addr
v_cndmask_b32 v251, -1, v251, s[58:59]             // LDC clip if OOB. offset
buffer_load_ubyte v252, v251, s[sgprSrdC:sgprSrdC+3], 0, offen offset:0 // load C for beta calc
_v_add_lshl_u32 v251, v3, v4, 0x0                  // scaleToBpe: accumulate d0 lower and *= bpe into Cin addr
v_cndmask_b32 v251, -1, v251, s[58:59]             // LDD clip if OOB. offset
v_accvgpr_read_b32 v[vgprValuC+13], acc0 // copy acc to vreg[0]
v_accvgpr_read_b32 v[vgprValuC+16], acc16 // copy acc to vreg[1]
v_accvgpr_read_b32 v[vgprValuC+19], acc32 // copy acc to vreg[2]
v_accvgpr_read_b32 v[vgprValuC+22], acc48 // copy acc to vreg[3]
v_accvgpr_read_b32 v[vgprValuC+25], acc64 // copy acc to vreg[4]
v_accvgpr_read_b32 v[vgprValuC+28], acc80 // copy acc to vreg[5]
v_accvgpr_read_b32 v[vgprValuC+31], acc96 // copy acc to vreg[6]
v_accvgpr_read_b32 v[vgprValuC+34], acc112 // copy acc to vreg[7]
v_accvgpr_read_b32 v[vgprValuC+37], acc1 // copy acc to vreg[8]
v_accvgpr_read_b32 v[vgprValuC+40], acc17 // copy acc to vreg[9]
v_accvgpr_read_b32 v[vgprValuC+43], acc33 // copy acc to vreg[10]
v_accvgpr_read_b32 v[vgprValuC+46], acc49 // copy acc to vreg[11]
v_accvgpr_read_b32 v[vgprValuC+49], acc65 // copy acc to vreg[12]
v_accvgpr_read_b32 v[vgprValuC+52], acc81 // copy acc to vreg[13]
v_accvgpr_read_b32 v[vgprValuC+55], acc97 // copy acc to vreg[14]
v_accvgpr_read_b32 v[vgprValuC+58], acc113 // copy acc to vreg[15]
v_accvgpr_read_b32 v[vgprValuC+61], acc2 // copy acc to vreg[16]
v_accvgpr_read_b32 v[vgprValuC+64], acc18 // copy acc to vreg[17]
v_accvgpr_read_b32 v[vgprValuC+67], acc34 // copy acc to vreg[18]
v_accvgpr_read_b32 v[vgprValuC+70], acc50 // copy acc to vreg[19]
v_accvgpr_read_b32 v[vgprValuC+73], acc66 // copy acc to vreg[20]
v_accvgpr_read_b32 v[vgprValuC+76], acc82 // copy acc to vreg[21]
v_accvgpr_read_b32 v[vgprValuC+79], acc98 // copy acc to vreg[22]
v_accvgpr_read_b32 v[vgprValuC+82], acc114 // copy acc to vreg[23]
v_accvgpr_read_b32 v[vgprValuC+85], acc3 // copy acc to vreg[24]
v_accvgpr_read_b32 v[vgprValuC+88], acc19 // copy acc to vreg[25]
v_accvgpr_read_b32 v[vgprValuC+91], acc35 // copy acc to vreg[26]
v_accvgpr_read_b32 v[vgprValuC+94], acc51 // copy acc to vreg[27]
v_accvgpr_read_b32 v[vgprValuC+97], acc67 // copy acc to vreg[28]
v_accvgpr_read_b32 v[vgprValuC+100], acc83 // copy acc to vreg[29]
v_accvgpr_read_b32 v[vgprValuC+103], acc99 // copy acc to vreg[30]
v_accvgpr_read_b32 v[vgprValuC+106], acc115 // copy acc to vreg[31]
v_accvgpr_read_b32 v[vgprValuC+109], acc4 // copy acc to vreg[32]
v_accvgpr_read_b32 v[vgprValuC+112], acc20 // copy acc to vreg[33]
v_accvgpr_read_b32 v[vgprValuC+115], acc36 // copy acc to vreg[34]
v_accvgpr_read_b32 v[vgprValuC+121], acc52 // copy acc to vreg[35]
v_accvgpr_read_b32 v[vgprValuC+124], acc68 // copy acc to vreg[36]
v_accvgpr_read_b32 v[vgprValuC+127], acc84 // copy acc to vreg[37]
v_accvgpr_read_b32 v[vgprValuC+130], acc100 // copy acc to vreg[38]
v_accvgpr_read_b32 v[vgprValuC+133], acc116 // copy acc to vreg[39]
v_accvgpr_read_b32 v[vgprValuC+136], acc5 // copy acc to vreg[40]
v_accvgpr_read_b32 v[vgprValuC+139], acc21 // copy acc to vreg[41]
v_accvgpr_read_b32 v[vgprValuC+142], acc37 // copy acc to vreg[42]
v_accvgpr_read_b32 v[vgprValuC+145], acc53 // copy acc to vreg[43]
v_accvgpr_read_b32 v[vgprValuC+148], acc69 // copy acc to vreg[44]
v_accvgpr_read_b32 v[vgprValuC+151], acc85 // copy acc to vreg[45]
v_accvgpr_read_b32 v[vgprValuC+154], acc101 // copy acc to vreg[46]
v_accvgpr_read_b32 v[vgprValuC+157], acc117 // copy acc to vreg[47]
v_accvgpr_read_b32 v[vgprValuC+160], acc6 // copy acc to vreg[48]
v_accvgpr_read_b32 v[vgprValuC+163], acc22 // copy acc to vreg[49]
v_accvgpr_read_b32 v[vgprValuC+166], acc38 // copy acc to vreg[50]
v_accvgpr_read_b32 v[vgprValuC+169], acc54 // copy acc to vreg[51]
v_accvgpr_read_b32 v[vgprValuC+172], acc70 // copy acc to vreg[52]
v_accvgpr_read_b32 v[vgprValuC+175], acc86 // copy acc to vreg[53]
v_accvgpr_read_b32 v[vgprValuC+178], acc102 // copy acc to vreg[54]
v_accvgpr_read_b32 v[vgprValuC+181], acc118 // copy acc to vreg[55]
v_accvgpr_read_b32 v[vgprValuC+184], acc7 // copy acc to vreg[56]
v_accvgpr_read_b32 v[vgprValuC+187], acc23 // copy acc to vreg[57]
v_accvgpr_read_b32 v[vgprValuC+190], acc39 // copy acc to vreg[58]
v_accvgpr_read_b32 v[vgprValuC+193], acc55 // copy acc to vreg[59]
v_accvgpr_read_b32 v[vgprValuC+196], acc71 // copy acc to vreg[60]
v_accvgpr_read_b32 v[vgprValuC+199], acc87 // copy acc to vreg[61]
v_accvgpr_read_b32 v[vgprValuC+202], acc103 // copy acc to vreg[62]
v_accvgpr_read_b32 v[vgprValuC+205], acc119 // copy acc to vreg[63]
v_accvgpr_read_b32 v[vgprValuC+208], acc8 // copy acc to vreg[64]
v_accvgpr_read_b32 v[vgprValuC+211], acc24 // copy acc to vreg[65]
v_accvgpr_read_b32 v[vgprValuC+214], acc40 // copy acc to vreg[66]
v_accvgpr_read_b32 v[vgprValuC+217], acc56 // copy acc to vreg[67]
v_accvgpr_read_b32 v[vgprValuC+220], acc72 // copy acc to vreg[68]
v_accvgpr_read_b32 v[vgprValuC+223], acc88 // copy acc to vreg[69]
v_accvgpr_read_b32 v[vgprValuC+226], acc104 // copy acc to vreg[70]
v_accvgpr_read_b32 v[vgprValuC+229], acc120 // copy acc to vreg[71]
v_accvgpr_read_b32 v[vgprValuC+232], acc9 // copy acc to vreg[72]
v_accvgpr_read_b32 v[vgprValuC+235], acc25 // copy acc to vreg[73]
v_accvgpr_read_b32 v[vgprValuC+238], acc41 // copy acc to vreg[74]
v_accvgpr_read_b32 v[vgprValuC+241], acc57 // copy acc to vreg[75]
v_accvgpr_read_b32 v[vgprValuC+244], acc73 // copy acc to vreg[76]
v_accvgpr_read_b32 v[vgprValuC+247], acc89 // copy acc to vreg[77]
v_accvgpr_read_b32 v[vgprValuC+250], acc105 // copy acc to vreg[78]
v_accvgpr_read_b32 v[vgprValuC+253], acc121 // copy acc to vreg[79]
s_nop 1                                            // 2 wait states required before reading vgpr

/* rC *= alpha batchElements=[(0, 0, 0, 0), (0, 0, 0, 1), (0, 0, 1, 0), (0, 0, 1, 1), (0, 0, 2, 0), (0, 0, 2, 1), (0, 0, 3, 0), (0, 0, 3, 1), (0, 0, 4, 0), (0, 0, 4, 1), (0, 0, 5, 0), (0, 0, 5, 1), (0, 0, 6, 0), (0, 0, 6, 1), (0, 0, 7, 0), (0, 0, 7, 1), (0, 0, 8, 0), (0, 0, 8, 1), (0, 0, 9, 0), (0, 0, 9, 1), (0, 0, 10, 0), (0, 0, 10, 1), (0, 0, 11, 0), (0, 0, 11, 1), (0, 0, 12, 0), (0, 0, 12, 1), (0, 0, 13, 0), (0, 0, 13, 1), (0, 0, 14, 0), (0, 0, 14, 1), (0, 0, 15, 0), (0, 0, 15, 1), (1, 0, 0, 0), (1, 0, 0, 1), (1, 0, 1, 0), (1, 0, 1, 1), (1, 0, 2, 0), (1, 0, 2, 1), (1, 0, 3, 0), (1, 0, 3, 1), (1, 0, 4, 0), (1, 0, 4, 1), (1, 0, 5, 0), (1, 0, 5, 1), (1, 0, 6, 0), (1, 0, 6, 1), (1, 0, 7, 0), (1, 0, 7, 1), (1, 0, 8, 0), (1, 0, 8, 1), (1, 0, 9, 0), (1, 0, 9, 1), (1, 0, 10, 0), (1, 0, 10, 1), (1, 0, 11, 0), (1, 0, 11, 1), (1, 0, 12, 0), (1, 0, 12, 1), (1, 0, 13, 0), (1, 0, 13, 1), (1, 0, 14, 0), (1, 0, 14, 1), (1, 0, 15, 0), (1, 0, 15, 1), (2, 0, 0, 0), (2, 0, 0, 1), (2, 0, 1, 0), (2, 0, 1, 1), (2, 0, 2, 0), (2, 0, 2, 1), (2, 0, 3, 0), (2, 0, 3, 1), (2, 0, 4, 0), (2, 0, 4, 1), (2, 0, 5, 0), (2, 0, 5, 1), (2, 0, 6, 0), (2, 0, 6, 1), (2, 0, 7, 0), (2, 0, 7, 1)] */
v_mul_f32 v[vgprValuC+13], s[sgprAlpha], v[vgprValuC+13] // *= alpha
v_mul_f32 v[vgprValuC+16], s[sgprAlpha], v[vgprValuC+16] // *= alpha
	;; [unrolled: 1-line block ×80, first 2 shown]
s_waitcnt vmcnt(0)                                 // wait C

/* apply mask, calc new C and issue writes */
v_mov_b32 v10, 0x207                               // flag for Nan and +/- inf
v_mov_b32 v8, 0x43700000                           // save 240.0f as max for clipping
v_mov_b32 v9, 0xC3700000                           // save -240.0f as min for clipping
v_cvt_f32_fp8 v6, v12 src0_sel:BYTE_0   // convert fp8 in lo_byte[0] to f32
_v_mac_f32 v[vgprValuC+13], v6, s[sgprBeta]        // finalSum = sum*alpha + C*beta
v_cmp_class_f32 s[54:55], v[vgprValuC+13], v10     // check NaN and +/-INF
v_med3_f32 v6, v[vgprValuC+13], v8, v9             // Clipping f32 value if exceeds the limit
v_cndmask_b32 v6, v6, v[vgprValuC+13], s[54:55]    // 
v_cvt_pk_fp8_f32  v13, v6, v6                      // convert f32 accumulated values to fp8
buffer_store_byte v13, v11, s[sgprSrdD:sgprSrdD+3], 0, offen, offset:0 // store D
v_cvt_f32_fp8 v6, v15 src0_sel:BYTE_0   // convert fp8 in lo_byte[0] to f32
_v_mac_f32 v[vgprValuC+16], v6, s[sgprBeta]        // finalSum = sum*alpha + C*beta
v_cmp_class_f32 s[54:55], v[vgprValuC+16], v10     // check NaN and +/-INF
v_med3_f32 v6, v[vgprValuC+16], v8, v9             // Clipping f32 value if exceeds the limit
v_cndmask_b32 v6, v6, v[vgprValuC+16], s[54:55]    // 
v_cvt_pk_fp8_f32  v16, v6, v6                      // convert f32 accumulated values to fp8
buffer_store_byte v16, v14, s[sgprSrdD:sgprSrdD+3], 0, offen, offset:0 // store D
v_cvt_f32_fp8 v6, v18 src0_sel:BYTE_0   // convert fp8 in lo_byte[0] to f32
_v_mac_f32 v[vgprValuC+19], v6, s[sgprBeta]        // finalSum = sum*alpha + C*beta
v_cmp_class_f32 s[54:55], v[vgprValuC+19], v10     // check NaN and +/-INF
v_med3_f32 v6, v[vgprValuC+19], v8, v9             // Clipping f32 value if exceeds the limit
v_cndmask_b32 v6, v6, v[vgprValuC+19], s[54:55]    // 
v_cvt_pk_fp8_f32  v19, v6, v6                      // convert f32 accumulated values to fp8
buffer_store_byte v19, v17, s[sgprSrdD:sgprSrdD+3], 0, offen, offset:0 // store D
v_cvt_f32_fp8 v6, v21 src0_sel:BYTE_0   // convert fp8 in lo_byte[0] to f32
_v_mac_f32 v[vgprValuC+22], v6, s[sgprBeta]        // finalSum = sum*alpha + C*beta
v_cmp_class_f32 s[54:55], v[vgprValuC+22], v10     // check NaN and +/-INF
v_med3_f32 v6, v[vgprValuC+22], v8, v9             // Clipping f32 value if exceeds the limit
v_cndmask_b32 v6, v6, v[vgprValuC+22], s[54:55]    // 
v_cvt_pk_fp8_f32  v22, v6, v6                      // convert f32 accumulated values to fp8
buffer_store_byte v22, v20, s[sgprSrdD:sgprSrdD+3], 0, offen, offset:0 // store D
v_cvt_f32_fp8 v6, v24 src0_sel:BYTE_0   // convert fp8 in lo_byte[0] to f32
_v_mac_f32 v[vgprValuC+25], v6, s[sgprBeta]        // finalSum = sum*alpha + C*beta
v_cmp_class_f32 s[54:55], v[vgprValuC+25], v10     // check NaN and +/-INF
v_med3_f32 v6, v[vgprValuC+25], v8, v9             // Clipping f32 value if exceeds the limit
v_cndmask_b32 v6, v6, v[vgprValuC+25], s[54:55]    // 
v_cvt_pk_fp8_f32  v25, v6, v6                      // convert f32 accumulated values to fp8
buffer_store_byte v25, v23, s[sgprSrdD:sgprSrdD+3], 0, offen, offset:0 // store D
v_cvt_f32_fp8 v6, v27 src0_sel:BYTE_0   // convert fp8 in lo_byte[0] to f32
_v_mac_f32 v[vgprValuC+28], v6, s[sgprBeta]        // finalSum = sum*alpha + C*beta
v_cmp_class_f32 s[54:55], v[vgprValuC+28], v10     // check NaN and +/-INF
v_med3_f32 v6, v[vgprValuC+28], v8, v9             // Clipping f32 value if exceeds the limit
v_cndmask_b32 v6, v6, v[vgprValuC+28], s[54:55]    // 
v_cvt_pk_fp8_f32  v28, v6, v6                      // convert f32 accumulated values to fp8
buffer_store_byte v28, v26, s[sgprSrdD:sgprSrdD+3], 0, offen, offset:0 // store D
v_cvt_f32_fp8 v6, v30 src0_sel:BYTE_0   // convert fp8 in lo_byte[0] to f32
_v_mac_f32 v[vgprValuC+31], v6, s[sgprBeta]        // finalSum = sum*alpha + C*beta
v_cmp_class_f32 s[54:55], v[vgprValuC+31], v10     // check NaN and +/-INF
v_med3_f32 v6, v[vgprValuC+31], v8, v9             // Clipping f32 value if exceeds the limit
v_cndmask_b32 v6, v6, v[vgprValuC+31], s[54:55]    // 
v_cvt_pk_fp8_f32  v31, v6, v6                      // convert f32 accumulated values to fp8
buffer_store_byte v31, v29, s[sgprSrdD:sgprSrdD+3], 0, offen, offset:0 // store D
v_cvt_f32_fp8 v6, v33 src0_sel:BYTE_0   // convert fp8 in lo_byte[0] to f32
_v_mac_f32 v[vgprValuC+34], v6, s[sgprBeta]        // finalSum = sum*alpha + C*beta
v_cmp_class_f32 s[54:55], v[vgprValuC+34], v10     // check NaN and +/-INF
v_med3_f32 v6, v[vgprValuC+34], v8, v9             // Clipping f32 value if exceeds the limit
v_cndmask_b32 v6, v6, v[vgprValuC+34], s[54:55]    // 
v_cvt_pk_fp8_f32  v34, v6, v6                      // convert f32 accumulated values to fp8
buffer_store_byte v34, v32, s[sgprSrdD:sgprSrdD+3], 0, offen, offset:0 // store D
v_cvt_f32_fp8 v6, v36 src0_sel:BYTE_0   // convert fp8 in lo_byte[0] to f32
_v_mac_f32 v[vgprValuC+37], v6, s[sgprBeta]        // finalSum = sum*alpha + C*beta
v_cmp_class_f32 s[54:55], v[vgprValuC+37], v10     // check NaN and +/-INF
v_med3_f32 v6, v[vgprValuC+37], v8, v9             // Clipping f32 value if exceeds the limit
v_cndmask_b32 v6, v6, v[vgprValuC+37], s[54:55]    // 
v_cvt_pk_fp8_f32  v37, v6, v6                      // convert f32 accumulated values to fp8
buffer_store_byte v37, v35, s[sgprSrdD:sgprSrdD+3], 0, offen, offset:0 // store D
v_cvt_f32_fp8 v6, v39 src0_sel:BYTE_0   // convert fp8 in lo_byte[0] to f32
_v_mac_f32 v[vgprValuC+40], v6, s[sgprBeta]        // finalSum = sum*alpha + C*beta
v_cmp_class_f32 s[54:55], v[vgprValuC+40], v10     // check NaN and +/-INF
v_med3_f32 v6, v[vgprValuC+40], v8, v9             // Clipping f32 value if exceeds the limit
v_cndmask_b32 v6, v6, v[vgprValuC+40], s[54:55]    // 
v_cvt_pk_fp8_f32  v40, v6, v6                      // convert f32 accumulated values to fp8
buffer_store_byte v40, v38, s[sgprSrdD:sgprSrdD+3], 0, offen, offset:0 // store D
v_cvt_f32_fp8 v6, v42 src0_sel:BYTE_0   // convert fp8 in lo_byte[0] to f32
_v_mac_f32 v[vgprValuC+43], v6, s[sgprBeta]        // finalSum = sum*alpha + C*beta
v_cmp_class_f32 s[54:55], v[vgprValuC+43], v10     // check NaN and +/-INF
v_med3_f32 v6, v[vgprValuC+43], v8, v9             // Clipping f32 value if exceeds the limit
v_cndmask_b32 v6, v6, v[vgprValuC+43], s[54:55]    // 
v_cvt_pk_fp8_f32  v43, v6, v6                      // convert f32 accumulated values to fp8
buffer_store_byte v43, v41, s[sgprSrdD:sgprSrdD+3], 0, offen, offset:0 // store D
v_cvt_f32_fp8 v6, v45 src0_sel:BYTE_0   // convert fp8 in lo_byte[0] to f32
_v_mac_f32 v[vgprValuC+46], v6, s[sgprBeta]        // finalSum = sum*alpha + C*beta
v_cmp_class_f32 s[54:55], v[vgprValuC+46], v10     // check NaN and +/-INF
v_med3_f32 v6, v[vgprValuC+46], v8, v9             // Clipping f32 value if exceeds the limit
v_cndmask_b32 v6, v6, v[vgprValuC+46], s[54:55]    // 
v_cvt_pk_fp8_f32  v46, v6, v6                      // convert f32 accumulated values to fp8
buffer_store_byte v46, v44, s[sgprSrdD:sgprSrdD+3], 0, offen, offset:0 // store D
v_cvt_f32_fp8 v6, v48 src0_sel:BYTE_0   // convert fp8 in lo_byte[0] to f32
_v_mac_f32 v[vgprValuC+49], v6, s[sgprBeta]        // finalSum = sum*alpha + C*beta
v_cmp_class_f32 s[54:55], v[vgprValuC+49], v10     // check NaN and +/-INF
v_med3_f32 v6, v[vgprValuC+49], v8, v9             // Clipping f32 value if exceeds the limit
v_cndmask_b32 v6, v6, v[vgprValuC+49], s[54:55]    // 
v_cvt_pk_fp8_f32  v49, v6, v6                      // convert f32 accumulated values to fp8
buffer_store_byte v49, v47, s[sgprSrdD:sgprSrdD+3], 0, offen, offset:0 // store D
v_cvt_f32_fp8 v6, v51 src0_sel:BYTE_0   // convert fp8 in lo_byte[0] to f32
_v_mac_f32 v[vgprValuC+52], v6, s[sgprBeta]        // finalSum = sum*alpha + C*beta
v_cmp_class_f32 s[54:55], v[vgprValuC+52], v10     // check NaN and +/-INF
v_med3_f32 v6, v[vgprValuC+52], v8, v9             // Clipping f32 value if exceeds the limit
v_cndmask_b32 v6, v6, v[vgprValuC+52], s[54:55]    // 
v_cvt_pk_fp8_f32  v52, v6, v6                      // convert f32 accumulated values to fp8
buffer_store_byte v52, v50, s[sgprSrdD:sgprSrdD+3], 0, offen, offset:0 // store D
v_cvt_f32_fp8 v6, v54 src0_sel:BYTE_0   // convert fp8 in lo_byte[0] to f32
_v_mac_f32 v[vgprValuC+55], v6, s[sgprBeta]        // finalSum = sum*alpha + C*beta
v_cmp_class_f32 s[54:55], v[vgprValuC+55], v10     // check NaN and +/-INF
v_med3_f32 v6, v[vgprValuC+55], v8, v9             // Clipping f32 value if exceeds the limit
v_cndmask_b32 v6, v6, v[vgprValuC+55], s[54:55]    // 
v_cvt_pk_fp8_f32  v55, v6, v6                      // convert f32 accumulated values to fp8
buffer_store_byte v55, v53, s[sgprSrdD:sgprSrdD+3], 0, offen, offset:0 // store D
v_cvt_f32_fp8 v6, v57 src0_sel:BYTE_0   // convert fp8 in lo_byte[0] to f32
_v_mac_f32 v[vgprValuC+58], v6, s[sgprBeta]        // finalSum = sum*alpha + C*beta
v_cmp_class_f32 s[54:55], v[vgprValuC+58], v10     // check NaN and +/-INF
v_med3_f32 v6, v[vgprValuC+58], v8, v9             // Clipping f32 value if exceeds the limit
v_cndmask_b32 v6, v6, v[vgprValuC+58], s[54:55]    // 
v_cvt_pk_fp8_f32  v58, v6, v6                      // convert f32 accumulated values to fp8
buffer_store_byte v58, v56, s[sgprSrdD:sgprSrdD+3], 0, offen, offset:0 // store D
v_cvt_f32_fp8 v6, v60 src0_sel:BYTE_0   // convert fp8 in lo_byte[0] to f32
_v_mac_f32 v[vgprValuC+61], v6, s[sgprBeta]        // finalSum = sum*alpha + C*beta
v_cmp_class_f32 s[54:55], v[vgprValuC+61], v10     // check NaN and +/-INF
v_med3_f32 v6, v[vgprValuC+61], v8, v9             // Clipping f32 value if exceeds the limit
v_cndmask_b32 v6, v6, v[vgprValuC+61], s[54:55]    // 
v_cvt_pk_fp8_f32  v61, v6, v6                      // convert f32 accumulated values to fp8
buffer_store_byte v61, v59, s[sgprSrdD:sgprSrdD+3], 0, offen, offset:0 // store D
v_cvt_f32_fp8 v6, v63 src0_sel:BYTE_0   // convert fp8 in lo_byte[0] to f32
_v_mac_f32 v[vgprValuC+64], v6, s[sgprBeta]        // finalSum = sum*alpha + C*beta
v_cmp_class_f32 s[54:55], v[vgprValuC+64], v10     // check NaN and +/-INF
v_med3_f32 v6, v[vgprValuC+64], v8, v9             // Clipping f32 value if exceeds the limit
v_cndmask_b32 v6, v6, v[vgprValuC+64], s[54:55]    // 
v_cvt_pk_fp8_f32  v64, v6, v6                      // convert f32 accumulated values to fp8
buffer_store_byte v64, v62, s[sgprSrdD:sgprSrdD+3], 0, offen, offset:0 // store D
v_cvt_f32_fp8 v6, v66 src0_sel:BYTE_0   // convert fp8 in lo_byte[0] to f32
_v_mac_f32 v[vgprValuC+67], v6, s[sgprBeta]        // finalSum = sum*alpha + C*beta
v_cmp_class_f32 s[54:55], v[vgprValuC+67], v10     // check NaN and +/-INF
v_med3_f32 v6, v[vgprValuC+67], v8, v9             // Clipping f32 value if exceeds the limit
v_cndmask_b32 v6, v6, v[vgprValuC+67], s[54:55]    // 
v_cvt_pk_fp8_f32  v67, v6, v6                      // convert f32 accumulated values to fp8
buffer_store_byte v67, v65, s[sgprSrdD:sgprSrdD+3], 0, offen, offset:0 // store D
v_cvt_f32_fp8 v6, v69 src0_sel:BYTE_0   // convert fp8 in lo_byte[0] to f32
_v_mac_f32 v[vgprValuC+70], v6, s[sgprBeta]        // finalSum = sum*alpha + C*beta
v_cmp_class_f32 s[54:55], v[vgprValuC+70], v10     // check NaN and +/-INF
v_med3_f32 v6, v[vgprValuC+70], v8, v9             // Clipping f32 value if exceeds the limit
v_cndmask_b32 v6, v6, v[vgprValuC+70], s[54:55]    // 
v_cvt_pk_fp8_f32  v70, v6, v6                      // convert f32 accumulated values to fp8
buffer_store_byte v70, v68, s[sgprSrdD:sgprSrdD+3], 0, offen, offset:0 // store D
v_cvt_f32_fp8 v6, v72 src0_sel:BYTE_0   // convert fp8 in lo_byte[0] to f32
_v_mac_f32 v[vgprValuC+73], v6, s[sgprBeta]        // finalSum = sum*alpha + C*beta
v_cmp_class_f32 s[54:55], v[vgprValuC+73], v10     // check NaN and +/-INF
v_med3_f32 v6, v[vgprValuC+73], v8, v9             // Clipping f32 value if exceeds the limit
v_cndmask_b32 v6, v6, v[vgprValuC+73], s[54:55]    // 
v_cvt_pk_fp8_f32  v73, v6, v6                      // convert f32 accumulated values to fp8
buffer_store_byte v73, v71, s[sgprSrdD:sgprSrdD+3], 0, offen, offset:0 // store D
v_cvt_f32_fp8 v6, v75 src0_sel:BYTE_0   // convert fp8 in lo_byte[0] to f32
_v_mac_f32 v[vgprValuC+76], v6, s[sgprBeta]        // finalSum = sum*alpha + C*beta
v_cmp_class_f32 s[54:55], v[vgprValuC+76], v10     // check NaN and +/-INF
v_med3_f32 v6, v[vgprValuC+76], v8, v9             // Clipping f32 value if exceeds the limit
v_cndmask_b32 v6, v6, v[vgprValuC+76], s[54:55]    // 
v_cvt_pk_fp8_f32  v76, v6, v6                      // convert f32 accumulated values to fp8
buffer_store_byte v76, v74, s[sgprSrdD:sgprSrdD+3], 0, offen, offset:0 // store D
v_cvt_f32_fp8 v6, v78 src0_sel:BYTE_0   // convert fp8 in lo_byte[0] to f32
_v_mac_f32 v[vgprValuC+79], v6, s[sgprBeta]        // finalSum = sum*alpha + C*beta
v_cmp_class_f32 s[54:55], v[vgprValuC+79], v10     // check NaN and +/-INF
v_med3_f32 v6, v[vgprValuC+79], v8, v9             // Clipping f32 value if exceeds the limit
v_cndmask_b32 v6, v6, v[vgprValuC+79], s[54:55]    // 
v_cvt_pk_fp8_f32  v79, v6, v6                      // convert f32 accumulated values to fp8
buffer_store_byte v79, v77, s[sgprSrdD:sgprSrdD+3], 0, offen, offset:0 // store D
v_cvt_f32_fp8 v6, v81 src0_sel:BYTE_0   // convert fp8 in lo_byte[0] to f32
_v_mac_f32 v[vgprValuC+82], v6, s[sgprBeta]        // finalSum = sum*alpha + C*beta
v_cmp_class_f32 s[54:55], v[vgprValuC+82], v10     // check NaN and +/-INF
v_med3_f32 v6, v[vgprValuC+82], v8, v9             // Clipping f32 value if exceeds the limit
v_cndmask_b32 v6, v6, v[vgprValuC+82], s[54:55]    // 
v_cvt_pk_fp8_f32  v82, v6, v6                      // convert f32 accumulated values to fp8
buffer_store_byte v82, v80, s[sgprSrdD:sgprSrdD+3], 0, offen, offset:0 // store D
v_cvt_f32_fp8 v6, v84 src0_sel:BYTE_0   // convert fp8 in lo_byte[0] to f32
_v_mac_f32 v[vgprValuC+85], v6, s[sgprBeta]        // finalSum = sum*alpha + C*beta
v_cmp_class_f32 s[54:55], v[vgprValuC+85], v10     // check NaN and +/-INF
v_med3_f32 v6, v[vgprValuC+85], v8, v9             // Clipping f32 value if exceeds the limit
v_cndmask_b32 v6, v6, v[vgprValuC+85], s[54:55]    // 
v_cvt_pk_fp8_f32  v85, v6, v6                      // convert f32 accumulated values to fp8
buffer_store_byte v85, v83, s[sgprSrdD:sgprSrdD+3], 0, offen, offset:0 // store D
v_cvt_f32_fp8 v6, v87 src0_sel:BYTE_0   // convert fp8 in lo_byte[0] to f32
_v_mac_f32 v[vgprValuC+88], v6, s[sgprBeta]        // finalSum = sum*alpha + C*beta
v_cmp_class_f32 s[54:55], v[vgprValuC+88], v10     // check NaN and +/-INF
v_med3_f32 v6, v[vgprValuC+88], v8, v9             // Clipping f32 value if exceeds the limit
v_cndmask_b32 v6, v6, v[vgprValuC+88], s[54:55]    // 
v_cvt_pk_fp8_f32  v88, v6, v6                      // convert f32 accumulated values to fp8
buffer_store_byte v88, v86, s[sgprSrdD:sgprSrdD+3], 0, offen, offset:0 // store D
v_cvt_f32_fp8 v6, v90 src0_sel:BYTE_0   // convert fp8 in lo_byte[0] to f32
_v_mac_f32 v[vgprValuC+91], v6, s[sgprBeta]        // finalSum = sum*alpha + C*beta
v_cmp_class_f32 s[54:55], v[vgprValuC+91], v10     // check NaN and +/-INF
v_med3_f32 v6, v[vgprValuC+91], v8, v9             // Clipping f32 value if exceeds the limit
v_cndmask_b32 v6, v6, v[vgprValuC+91], s[54:55]    // 
v_cvt_pk_fp8_f32  v91, v6, v6                      // convert f32 accumulated values to fp8
buffer_store_byte v91, v89, s[sgprSrdD:sgprSrdD+3], 0, offen, offset:0 // store D
v_cvt_f32_fp8 v6, v93 src0_sel:BYTE_0   // convert fp8 in lo_byte[0] to f32
_v_mac_f32 v[vgprValuC+94], v6, s[sgprBeta]        // finalSum = sum*alpha + C*beta
v_cmp_class_f32 s[54:55], v[vgprValuC+94], v10     // check NaN and +/-INF
v_med3_f32 v6, v[vgprValuC+94], v8, v9             // Clipping f32 value if exceeds the limit
v_cndmask_b32 v6, v6, v[vgprValuC+94], s[54:55]    // 
v_cvt_pk_fp8_f32  v94, v6, v6                      // convert f32 accumulated values to fp8
buffer_store_byte v94, v92, s[sgprSrdD:sgprSrdD+3], 0, offen, offset:0 // store D
v_cvt_f32_fp8 v6, v96 src0_sel:BYTE_0   // convert fp8 in lo_byte[0] to f32
_v_mac_f32 v[vgprValuC+97], v6, s[sgprBeta]        // finalSum = sum*alpha + C*beta
v_cmp_class_f32 s[54:55], v[vgprValuC+97], v10     // check NaN and +/-INF
v_med3_f32 v6, v[vgprValuC+97], v8, v9             // Clipping f32 value if exceeds the limit
v_cndmask_b32 v6, v6, v[vgprValuC+97], s[54:55]    // 
v_cvt_pk_fp8_f32  v97, v6, v6                      // convert f32 accumulated values to fp8
buffer_store_byte v97, v95, s[sgprSrdD:sgprSrdD+3], 0, offen, offset:0 // store D
v_cvt_f32_fp8 v6, v99 src0_sel:BYTE_0   // convert fp8 in lo_byte[0] to f32
_v_mac_f32 v[vgprValuC+100], v6, s[sgprBeta]       // finalSum = sum*alpha + C*beta
v_cmp_class_f32 s[54:55], v[vgprValuC+100], v10    // check NaN and +/-INF
v_med3_f32 v6, v[vgprValuC+100], v8, v9            // Clipping f32 value if exceeds the limit
v_cndmask_b32 v6, v6, v[vgprValuC+100], s[54:55]   // 
v_cvt_pk_fp8_f32  v100, v6, v6                     // convert f32 accumulated values to fp8
buffer_store_byte v100, v98, s[sgprSrdD:sgprSrdD+3], 0, offen, offset:0 // store D
v_cvt_f32_fp8 v6, v102 src0_sel:BYTE_0   // convert fp8 in lo_byte[0] to f32
_v_mac_f32 v[vgprValuC+103], v6, s[sgprBeta]       // finalSum = sum*alpha + C*beta
v_cmp_class_f32 s[54:55], v[vgprValuC+103], v10    // check NaN and +/-INF
v_med3_f32 v6, v[vgprValuC+103], v8, v9            // Clipping f32 value if exceeds the limit
v_cndmask_b32 v6, v6, v[vgprValuC+103], s[54:55]   // 
v_cvt_pk_fp8_f32  v103, v6, v6                     // convert f32 accumulated values to fp8
buffer_store_byte v103, v101, s[sgprSrdD:sgprSrdD+3], 0, offen, offset:0 // store D
v_cvt_f32_fp8 v6, v105 src0_sel:BYTE_0   // convert fp8 in lo_byte[0] to f32
_v_mac_f32 v[vgprValuC+106], v6, s[sgprBeta]       // finalSum = sum*alpha + C*beta
v_cmp_class_f32 s[54:55], v[vgprValuC+106], v10    // check NaN and +/-INF
v_med3_f32 v6, v[vgprValuC+106], v8, v9            // Clipping f32 value if exceeds the limit
v_cndmask_b32 v6, v6, v[vgprValuC+106], s[54:55]   // 
v_cvt_pk_fp8_f32  v106, v6, v6                     // convert f32 accumulated values to fp8
buffer_store_byte v106, v104, s[sgprSrdD:sgprSrdD+3], 0, offen, offset:0 // store D
v_cvt_f32_fp8 v6, v108 src0_sel:BYTE_0   // convert fp8 in lo_byte[0] to f32
_v_mac_f32 v[vgprValuC+109], v6, s[sgprBeta]       // finalSum = sum*alpha + C*beta
v_cmp_class_f32 s[54:55], v[vgprValuC+109], v10    // check NaN and +/-INF
v_med3_f32 v6, v[vgprValuC+109], v8, v9            // Clipping f32 value if exceeds the limit
v_cndmask_b32 v6, v6, v[vgprValuC+109], s[54:55]   // 
v_cvt_pk_fp8_f32  v109, v6, v6                     // convert f32 accumulated values to fp8
buffer_store_byte v109, v107, s[sgprSrdD:sgprSrdD+3], 0, offen, offset:0 // store D
v_cvt_f32_fp8 v6, v111 src0_sel:BYTE_0   // convert fp8 in lo_byte[0] to f32
_v_mac_f32 v[vgprValuC+112], v6, s[sgprBeta]       // finalSum = sum*alpha + C*beta
v_cmp_class_f32 s[54:55], v[vgprValuC+112], v10    // check NaN and +/-INF
v_med3_f32 v6, v[vgprValuC+112], v8, v9            // Clipping f32 value if exceeds the limit
v_cndmask_b32 v6, v6, v[vgprValuC+112], s[54:55]   // 
v_cvt_pk_fp8_f32  v112, v6, v6                     // convert f32 accumulated values to fp8
buffer_store_byte v112, v110, s[sgprSrdD:sgprSrdD+3], 0, offen, offset:0 // store D
v_cvt_f32_fp8 v6, v114 src0_sel:BYTE_0   // convert fp8 in lo_byte[0] to f32
_v_mac_f32 v[vgprValuC+115], v6, s[sgprBeta]       // finalSum = sum*alpha + C*beta
v_cmp_class_f32 s[54:55], v[vgprValuC+115], v10    // check NaN and +/-INF
v_med3_f32 v6, v[vgprValuC+115], v8, v9            // Clipping f32 value if exceeds the limit
v_cndmask_b32 v6, v6, v[vgprValuC+115], s[54:55]   // 
v_cvt_pk_fp8_f32  v115, v6, v6                     // convert f32 accumulated values to fp8
buffer_store_byte v115, v113, s[sgprSrdD:sgprSrdD+3], 0, offen, offset:0 // store D
v_cvt_f32_fp8 v6, v120 src0_sel:BYTE_0   // convert fp8 in lo_byte[0] to f32
_v_mac_f32 v[vgprValuC+121], v6, s[sgprBeta]       // finalSum = sum*alpha + C*beta
v_cmp_class_f32 s[54:55], v[vgprValuC+121], v10    // check NaN and +/-INF
v_med3_f32 v6, v[vgprValuC+121], v8, v9            // Clipping f32 value if exceeds the limit
v_cndmask_b32 v6, v6, v[vgprValuC+121], s[54:55]   // 
v_cvt_pk_fp8_f32  v121, v6, v6                     // convert f32 accumulated values to fp8
buffer_store_byte v121, v119, s[sgprSrdD:sgprSrdD+3], 0, offen, offset:0 // store D
v_cvt_f32_fp8 v6, v123 src0_sel:BYTE_0   // convert fp8 in lo_byte[0] to f32
_v_mac_f32 v[vgprValuC+124], v6, s[sgprBeta]       // finalSum = sum*alpha + C*beta
v_cmp_class_f32 s[54:55], v[vgprValuC+124], v10    // check NaN and +/-INF
v_med3_f32 v6, v[vgprValuC+124], v8, v9            // Clipping f32 value if exceeds the limit
v_cndmask_b32 v6, v6, v[vgprValuC+124], s[54:55]   // 
v_cvt_pk_fp8_f32  v124, v6, v6                     // convert f32 accumulated values to fp8
buffer_store_byte v124, v122, s[sgprSrdD:sgprSrdD+3], 0, offen, offset:0 // store D
v_cvt_f32_fp8 v6, v126 src0_sel:BYTE_0   // convert fp8 in lo_byte[0] to f32
_v_mac_f32 v[vgprValuC+127], v6, s[sgprBeta]       // finalSum = sum*alpha + C*beta
v_cmp_class_f32 s[54:55], v[vgprValuC+127], v10    // check NaN and +/-INF
v_med3_f32 v6, v[vgprValuC+127], v8, v9            // Clipping f32 value if exceeds the limit
v_cndmask_b32 v6, v6, v[vgprValuC+127], s[54:55]   // 
v_cvt_pk_fp8_f32  v127, v6, v6                     // convert f32 accumulated values to fp8
buffer_store_byte v127, v125, s[sgprSrdD:sgprSrdD+3], 0, offen, offset:0 // store D
v_cvt_f32_fp8 v6, v129 src0_sel:BYTE_0   // convert fp8 in lo_byte[0] to f32
_v_mac_f32 v[vgprValuC+130], v6, s[sgprBeta]       // finalSum = sum*alpha + C*beta
v_cmp_class_f32 s[54:55], v[vgprValuC+130], v10    // check NaN and +/-INF
v_med3_f32 v6, v[vgprValuC+130], v8, v9            // Clipping f32 value if exceeds the limit
v_cndmask_b32 v6, v6, v[vgprValuC+130], s[54:55]   // 
v_cvt_pk_fp8_f32  v130, v6, v6                     // convert f32 accumulated values to fp8
buffer_store_byte v130, v128, s[sgprSrdD:sgprSrdD+3], 0, offen, offset:0 // store D
v_cvt_f32_fp8 v6, v132 src0_sel:BYTE_0   // convert fp8 in lo_byte[0] to f32
_v_mac_f32 v[vgprValuC+133], v6, s[sgprBeta]       // finalSum = sum*alpha + C*beta
v_cmp_class_f32 s[54:55], v[vgprValuC+133], v10    // check NaN and +/-INF
v_med3_f32 v6, v[vgprValuC+133], v8, v9            // Clipping f32 value if exceeds the limit
v_cndmask_b32 v6, v6, v[vgprValuC+133], s[54:55]   // 
v_cvt_pk_fp8_f32  v133, v6, v6                     // convert f32 accumulated values to fp8
buffer_store_byte v133, v131, s[sgprSrdD:sgprSrdD+3], 0, offen, offset:0 // store D
v_cvt_f32_fp8 v6, v135 src0_sel:BYTE_0   // convert fp8 in lo_byte[0] to f32
_v_mac_f32 v[vgprValuC+136], v6, s[sgprBeta]       // finalSum = sum*alpha + C*beta
v_cmp_class_f32 s[54:55], v[vgprValuC+136], v10    // check NaN and +/-INF
v_med3_f32 v6, v[vgprValuC+136], v8, v9            // Clipping f32 value if exceeds the limit
v_cndmask_b32 v6, v6, v[vgprValuC+136], s[54:55]   // 
v_cvt_pk_fp8_f32  v136, v6, v6                     // convert f32 accumulated values to fp8
buffer_store_byte v136, v134, s[sgprSrdD:sgprSrdD+3], 0, offen, offset:0 // store D
v_cvt_f32_fp8 v6, v138 src0_sel:BYTE_0   // convert fp8 in lo_byte[0] to f32
_v_mac_f32 v[vgprValuC+139], v6, s[sgprBeta]       // finalSum = sum*alpha + C*beta
v_cmp_class_f32 s[54:55], v[vgprValuC+139], v10    // check NaN and +/-INF
v_med3_f32 v6, v[vgprValuC+139], v8, v9            // Clipping f32 value if exceeds the limit
v_cndmask_b32 v6, v6, v[vgprValuC+139], s[54:55]   // 
v_cvt_pk_fp8_f32  v139, v6, v6                     // convert f32 accumulated values to fp8
buffer_store_byte v139, v137, s[sgprSrdD:sgprSrdD+3], 0, offen, offset:0 // store D
v_cvt_f32_fp8 v6, v141 src0_sel:BYTE_0   // convert fp8 in lo_byte[0] to f32
_v_mac_f32 v[vgprValuC+142], v6, s[sgprBeta]       // finalSum = sum*alpha + C*beta
v_cmp_class_f32 s[54:55], v[vgprValuC+142], v10    // check NaN and +/-INF
v_med3_f32 v6, v[vgprValuC+142], v8, v9            // Clipping f32 value if exceeds the limit
v_cndmask_b32 v6, v6, v[vgprValuC+142], s[54:55]   // 
v_cvt_pk_fp8_f32  v142, v6, v6                     // convert f32 accumulated values to fp8
buffer_store_byte v142, v140, s[sgprSrdD:sgprSrdD+3], 0, offen, offset:0 // store D
v_cvt_f32_fp8 v6, v144 src0_sel:BYTE_0   // convert fp8 in lo_byte[0] to f32
_v_mac_f32 v[vgprValuC+145], v6, s[sgprBeta]       // finalSum = sum*alpha + C*beta
v_cmp_class_f32 s[54:55], v[vgprValuC+145], v10    // check NaN and +/-INF
v_med3_f32 v6, v[vgprValuC+145], v8, v9            // Clipping f32 value if exceeds the limit
v_cndmask_b32 v6, v6, v[vgprValuC+145], s[54:55]   // 
v_cvt_pk_fp8_f32  v145, v6, v6                     // convert f32 accumulated values to fp8
buffer_store_byte v145, v143, s[sgprSrdD:sgprSrdD+3], 0, offen, offset:0 // store D
v_cvt_f32_fp8 v6, v147 src0_sel:BYTE_0   // convert fp8 in lo_byte[0] to f32
_v_mac_f32 v[vgprValuC+148], v6, s[sgprBeta]       // finalSum = sum*alpha + C*beta
v_cmp_class_f32 s[54:55], v[vgprValuC+148], v10    // check NaN and +/-INF
v_med3_f32 v6, v[vgprValuC+148], v8, v9            // Clipping f32 value if exceeds the limit
v_cndmask_b32 v6, v6, v[vgprValuC+148], s[54:55]   // 
v_cvt_pk_fp8_f32  v148, v6, v6                     // convert f32 accumulated values to fp8
buffer_store_byte v148, v146, s[sgprSrdD:sgprSrdD+3], 0, offen, offset:0 // store D
v_cvt_f32_fp8 v6, v150 src0_sel:BYTE_0   // convert fp8 in lo_byte[0] to f32
_v_mac_f32 v[vgprValuC+151], v6, s[sgprBeta]       // finalSum = sum*alpha + C*beta
v_cmp_class_f32 s[54:55], v[vgprValuC+151], v10    // check NaN and +/-INF
v_med3_f32 v6, v[vgprValuC+151], v8, v9            // Clipping f32 value if exceeds the limit
v_cndmask_b32 v6, v6, v[vgprValuC+151], s[54:55]   // 
v_cvt_pk_fp8_f32  v151, v6, v6                     // convert f32 accumulated values to fp8
buffer_store_byte v151, v149, s[sgprSrdD:sgprSrdD+3], 0, offen, offset:0 // store D
v_cvt_f32_fp8 v6, v153 src0_sel:BYTE_0   // convert fp8 in lo_byte[0] to f32
_v_mac_f32 v[vgprValuC+154], v6, s[sgprBeta]       // finalSum = sum*alpha + C*beta
v_cmp_class_f32 s[54:55], v[vgprValuC+154], v10    // check NaN and +/-INF
v_med3_f32 v6, v[vgprValuC+154], v8, v9            // Clipping f32 value if exceeds the limit
v_cndmask_b32 v6, v6, v[vgprValuC+154], s[54:55]   // 
v_cvt_pk_fp8_f32  v154, v6, v6                     // convert f32 accumulated values to fp8
buffer_store_byte v154, v152, s[sgprSrdD:sgprSrdD+3], 0, offen, offset:0 // store D
v_cvt_f32_fp8 v6, v156 src0_sel:BYTE_0   // convert fp8 in lo_byte[0] to f32
_v_mac_f32 v[vgprValuC+157], v6, s[sgprBeta]       // finalSum = sum*alpha + C*beta
v_cmp_class_f32 s[54:55], v[vgprValuC+157], v10    // check NaN and +/-INF
v_med3_f32 v6, v[vgprValuC+157], v8, v9            // Clipping f32 value if exceeds the limit
v_cndmask_b32 v6, v6, v[vgprValuC+157], s[54:55]   // 
v_cvt_pk_fp8_f32  v157, v6, v6                     // convert f32 accumulated values to fp8
buffer_store_byte v157, v155, s[sgprSrdD:sgprSrdD+3], 0, offen, offset:0 // store D
v_cvt_f32_fp8 v6, v159 src0_sel:BYTE_0   // convert fp8 in lo_byte[0] to f32
_v_mac_f32 v[vgprValuC+160], v6, s[sgprBeta]       // finalSum = sum*alpha + C*beta
v_cmp_class_f32 s[54:55], v[vgprValuC+160], v10    // check NaN and +/-INF
v_med3_f32 v6, v[vgprValuC+160], v8, v9            // Clipping f32 value if exceeds the limit
v_cndmask_b32 v6, v6, v[vgprValuC+160], s[54:55]   // 
v_cvt_pk_fp8_f32  v160, v6, v6                     // convert f32 accumulated values to fp8
buffer_store_byte v160, v158, s[sgprSrdD:sgprSrdD+3], 0, offen, offset:0 // store D
v_cvt_f32_fp8 v6, v162 src0_sel:BYTE_0   // convert fp8 in lo_byte[0] to f32
_v_mac_f32 v[vgprValuC+163], v6, s[sgprBeta]       // finalSum = sum*alpha + C*beta
v_cmp_class_f32 s[54:55], v[vgprValuC+163], v10    // check NaN and +/-INF
v_med3_f32 v6, v[vgprValuC+163], v8, v9            // Clipping f32 value if exceeds the limit
v_cndmask_b32 v6, v6, v[vgprValuC+163], s[54:55]   // 
v_cvt_pk_fp8_f32  v163, v6, v6                     // convert f32 accumulated values to fp8
buffer_store_byte v163, v161, s[sgprSrdD:sgprSrdD+3], 0, offen, offset:0 // store D
v_cvt_f32_fp8 v6, v165 src0_sel:BYTE_0   // convert fp8 in lo_byte[0] to f32
_v_mac_f32 v[vgprValuC+166], v6, s[sgprBeta]       // finalSum = sum*alpha + C*beta
v_cmp_class_f32 s[54:55], v[vgprValuC+166], v10    // check NaN and +/-INF
v_med3_f32 v6, v[vgprValuC+166], v8, v9            // Clipping f32 value if exceeds the limit
v_cndmask_b32 v6, v6, v[vgprValuC+166], s[54:55]   // 
v_cvt_pk_fp8_f32  v166, v6, v6                     // convert f32 accumulated values to fp8
buffer_store_byte v166, v164, s[sgprSrdD:sgprSrdD+3], 0, offen, offset:0 // store D
v_cvt_f32_fp8 v6, v168 src0_sel:BYTE_0   // convert fp8 in lo_byte[0] to f32
_v_mac_f32 v[vgprValuC+169], v6, s[sgprBeta]       // finalSum = sum*alpha + C*beta
v_cmp_class_f32 s[54:55], v[vgprValuC+169], v10    // check NaN and +/-INF
v_med3_f32 v6, v[vgprValuC+169], v8, v9            // Clipping f32 value if exceeds the limit
v_cndmask_b32 v6, v6, v[vgprValuC+169], s[54:55]   // 
v_cvt_pk_fp8_f32  v169, v6, v6                     // convert f32 accumulated values to fp8
buffer_store_byte v169, v167, s[sgprSrdD:sgprSrdD+3], 0, offen, offset:0 // store D
v_cvt_f32_fp8 v6, v171 src0_sel:BYTE_0   // convert fp8 in lo_byte[0] to f32
_v_mac_f32 v[vgprValuC+172], v6, s[sgprBeta]       // finalSum = sum*alpha + C*beta
v_cmp_class_f32 s[54:55], v[vgprValuC+172], v10    // check NaN and +/-INF
v_med3_f32 v6, v[vgprValuC+172], v8, v9            // Clipping f32 value if exceeds the limit
v_cndmask_b32 v6, v6, v[vgprValuC+172], s[54:55]   // 
v_cvt_pk_fp8_f32  v172, v6, v6                     // convert f32 accumulated values to fp8
buffer_store_byte v172, v170, s[sgprSrdD:sgprSrdD+3], 0, offen, offset:0 // store D
v_cvt_f32_fp8 v6, v174 src0_sel:BYTE_0   // convert fp8 in lo_byte[0] to f32
_v_mac_f32 v[vgprValuC+175], v6, s[sgprBeta]       // finalSum = sum*alpha + C*beta
v_cmp_class_f32 s[54:55], v[vgprValuC+175], v10    // check NaN and +/-INF
v_med3_f32 v6, v[vgprValuC+175], v8, v9            // Clipping f32 value if exceeds the limit
v_cndmask_b32 v6, v6, v[vgprValuC+175], s[54:55]   // 
v_cvt_pk_fp8_f32  v175, v6, v6                     // convert f32 accumulated values to fp8
buffer_store_byte v175, v173, s[sgprSrdD:sgprSrdD+3], 0, offen, offset:0 // store D
v_cvt_f32_fp8 v6, v177 src0_sel:BYTE_0   // convert fp8 in lo_byte[0] to f32
_v_mac_f32 v[vgprValuC+178], v6, s[sgprBeta]       // finalSum = sum*alpha + C*beta
v_cmp_class_f32 s[54:55], v[vgprValuC+178], v10    // check NaN and +/-INF
v_med3_f32 v6, v[vgprValuC+178], v8, v9            // Clipping f32 value if exceeds the limit
v_cndmask_b32 v6, v6, v[vgprValuC+178], s[54:55]   // 
v_cvt_pk_fp8_f32  v178, v6, v6                     // convert f32 accumulated values to fp8
buffer_store_byte v178, v176, s[sgprSrdD:sgprSrdD+3], 0, offen, offset:0 // store D
v_cvt_f32_fp8 v6, v180 src0_sel:BYTE_0   // convert fp8 in lo_byte[0] to f32
_v_mac_f32 v[vgprValuC+181], v6, s[sgprBeta]       // finalSum = sum*alpha + C*beta
v_cmp_class_f32 s[54:55], v[vgprValuC+181], v10    // check NaN and +/-INF
v_med3_f32 v6, v[vgprValuC+181], v8, v9            // Clipping f32 value if exceeds the limit
v_cndmask_b32 v6, v6, v[vgprValuC+181], s[54:55]   // 
v_cvt_pk_fp8_f32  v181, v6, v6                     // convert f32 accumulated values to fp8
buffer_store_byte v181, v179, s[sgprSrdD:sgprSrdD+3], 0, offen, offset:0 // store D
v_cvt_f32_fp8 v6, v183 src0_sel:BYTE_0   // convert fp8 in lo_byte[0] to f32
_v_mac_f32 v[vgprValuC+184], v6, s[sgprBeta]       // finalSum = sum*alpha + C*beta
v_cmp_class_f32 s[54:55], v[vgprValuC+184], v10    // check NaN and +/-INF
v_med3_f32 v6, v[vgprValuC+184], v8, v9            // Clipping f32 value if exceeds the limit
v_cndmask_b32 v6, v6, v[vgprValuC+184], s[54:55]   // 
v_cvt_pk_fp8_f32  v184, v6, v6                     // convert f32 accumulated values to fp8
buffer_store_byte v184, v182, s[sgprSrdD:sgprSrdD+3], 0, offen, offset:0 // store D
v_cvt_f32_fp8 v6, v186 src0_sel:BYTE_0   // convert fp8 in lo_byte[0] to f32
_v_mac_f32 v[vgprValuC+187], v6, s[sgprBeta]       // finalSum = sum*alpha + C*beta
v_cmp_class_f32 s[54:55], v[vgprValuC+187], v10    // check NaN and +/-INF
v_med3_f32 v6, v[vgprValuC+187], v8, v9            // Clipping f32 value if exceeds the limit
v_cndmask_b32 v6, v6, v[vgprValuC+187], s[54:55]   // 
v_cvt_pk_fp8_f32  v187, v6, v6                     // convert f32 accumulated values to fp8
buffer_store_byte v187, v185, s[sgprSrdD:sgprSrdD+3], 0, offen, offset:0 // store D
v_cvt_f32_fp8 v6, v189 src0_sel:BYTE_0   // convert fp8 in lo_byte[0] to f32
_v_mac_f32 v[vgprValuC+190], v6, s[sgprBeta]       // finalSum = sum*alpha + C*beta
v_cmp_class_f32 s[54:55], v[vgprValuC+190], v10    // check NaN and +/-INF
v_med3_f32 v6, v[vgprValuC+190], v8, v9            // Clipping f32 value if exceeds the limit
v_cndmask_b32 v6, v6, v[vgprValuC+190], s[54:55]   // 
v_cvt_pk_fp8_f32  v190, v6, v6                     // convert f32 accumulated values to fp8
buffer_store_byte v190, v188, s[sgprSrdD:sgprSrdD+3], 0, offen, offset:0 // store D
v_cvt_f32_fp8 v6, v192 src0_sel:BYTE_0   // convert fp8 in lo_byte[0] to f32
_v_mac_f32 v[vgprValuC+193], v6, s[sgprBeta]       // finalSum = sum*alpha + C*beta
v_cmp_class_f32 s[54:55], v[vgprValuC+193], v10    // check NaN and +/-INF
v_med3_f32 v6, v[vgprValuC+193], v8, v9            // Clipping f32 value if exceeds the limit
v_cndmask_b32 v6, v6, v[vgprValuC+193], s[54:55]   // 
v_cvt_pk_fp8_f32  v193, v6, v6                     // convert f32 accumulated values to fp8
buffer_store_byte v193, v191, s[sgprSrdD:sgprSrdD+3], 0, offen, offset:0 // store D
v_cvt_f32_fp8 v6, v195 src0_sel:BYTE_0   // convert fp8 in lo_byte[0] to f32
_v_mac_f32 v[vgprValuC+196], v6, s[sgprBeta]       // finalSum = sum*alpha + C*beta
v_cmp_class_f32 s[54:55], v[vgprValuC+196], v10    // check NaN and +/-INF
v_med3_f32 v6, v[vgprValuC+196], v8, v9            // Clipping f32 value if exceeds the limit
v_cndmask_b32 v6, v6, v[vgprValuC+196], s[54:55]   // 
v_cvt_pk_fp8_f32  v196, v6, v6                     // convert f32 accumulated values to fp8
buffer_store_byte v196, v194, s[sgprSrdD:sgprSrdD+3], 0, offen, offset:0 // store D
v_cvt_f32_fp8 v6, v198 src0_sel:BYTE_0   // convert fp8 in lo_byte[0] to f32
_v_mac_f32 v[vgprValuC+199], v6, s[sgprBeta]       // finalSum = sum*alpha + C*beta
v_cmp_class_f32 s[54:55], v[vgprValuC+199], v10    // check NaN and +/-INF
v_med3_f32 v6, v[vgprValuC+199], v8, v9            // Clipping f32 value if exceeds the limit
v_cndmask_b32 v6, v6, v[vgprValuC+199], s[54:55]   // 
v_cvt_pk_fp8_f32  v199, v6, v6                     // convert f32 accumulated values to fp8
buffer_store_byte v199, v197, s[sgprSrdD:sgprSrdD+3], 0, offen, offset:0 // store D
v_cvt_f32_fp8 v6, v201 src0_sel:BYTE_0   // convert fp8 in lo_byte[0] to f32
_v_mac_f32 v[vgprValuC+202], v6, s[sgprBeta]       // finalSum = sum*alpha + C*beta
v_cmp_class_f32 s[54:55], v[vgprValuC+202], v10    // check NaN and +/-INF
v_med3_f32 v6, v[vgprValuC+202], v8, v9            // Clipping f32 value if exceeds the limit
v_cndmask_b32 v6, v6, v[vgprValuC+202], s[54:55]   // 
v_cvt_pk_fp8_f32  v202, v6, v6                     // convert f32 accumulated values to fp8
buffer_store_byte v202, v200, s[sgprSrdD:sgprSrdD+3], 0, offen, offset:0 // store D
v_cvt_f32_fp8 v6, v204 src0_sel:BYTE_0   // convert fp8 in lo_byte[0] to f32
_v_mac_f32 v[vgprValuC+205], v6, s[sgprBeta]       // finalSum = sum*alpha + C*beta
v_cmp_class_f32 s[54:55], v[vgprValuC+205], v10    // check NaN and +/-INF
v_med3_f32 v6, v[vgprValuC+205], v8, v9            // Clipping f32 value if exceeds the limit
v_cndmask_b32 v6, v6, v[vgprValuC+205], s[54:55]   // 
v_cvt_pk_fp8_f32  v205, v6, v6                     // convert f32 accumulated values to fp8
buffer_store_byte v205, v203, s[sgprSrdD:sgprSrdD+3], 0, offen, offset:0 // store D
v_cvt_f32_fp8 v6, v207 src0_sel:BYTE_0   // convert fp8 in lo_byte[0] to f32
_v_mac_f32 v[vgprValuC+208], v6, s[sgprBeta]       // finalSum = sum*alpha + C*beta
v_cmp_class_f32 s[54:55], v[vgprValuC+208], v10    // check NaN and +/-INF
v_med3_f32 v6, v[vgprValuC+208], v8, v9            // Clipping f32 value if exceeds the limit
v_cndmask_b32 v6, v6, v[vgprValuC+208], s[54:55]   // 
v_cvt_pk_fp8_f32  v208, v6, v6                     // convert f32 accumulated values to fp8
buffer_store_byte v208, v206, s[sgprSrdD:sgprSrdD+3], 0, offen, offset:0 // store D
v_cvt_f32_fp8 v6, v210 src0_sel:BYTE_0   // convert fp8 in lo_byte[0] to f32
_v_mac_f32 v[vgprValuC+211], v6, s[sgprBeta]       // finalSum = sum*alpha + C*beta
v_cmp_class_f32 s[54:55], v[vgprValuC+211], v10    // check NaN and +/-INF
v_med3_f32 v6, v[vgprValuC+211], v8, v9            // Clipping f32 value if exceeds the limit
v_cndmask_b32 v6, v6, v[vgprValuC+211], s[54:55]   // 
v_cvt_pk_fp8_f32  v211, v6, v6                     // convert f32 accumulated values to fp8
buffer_store_byte v211, v209, s[sgprSrdD:sgprSrdD+3], 0, offen, offset:0 // store D
v_cvt_f32_fp8 v6, v213 src0_sel:BYTE_0   // convert fp8 in lo_byte[0] to f32
_v_mac_f32 v[vgprValuC+214], v6, s[sgprBeta]       // finalSum = sum*alpha + C*beta
v_cmp_class_f32 s[54:55], v[vgprValuC+214], v10    // check NaN and +/-INF
v_med3_f32 v6, v[vgprValuC+214], v8, v9            // Clipping f32 value if exceeds the limit
v_cndmask_b32 v6, v6, v[vgprValuC+214], s[54:55]   // 
v_cvt_pk_fp8_f32  v214, v6, v6                     // convert f32 accumulated values to fp8
buffer_store_byte v214, v212, s[sgprSrdD:sgprSrdD+3], 0, offen, offset:0 // store D
v_cvt_f32_fp8 v6, v216 src0_sel:BYTE_0   // convert fp8 in lo_byte[0] to f32
_v_mac_f32 v[vgprValuC+217], v6, s[sgprBeta]       // finalSum = sum*alpha + C*beta
v_cmp_class_f32 s[54:55], v[vgprValuC+217], v10    // check NaN and +/-INF
v_med3_f32 v6, v[vgprValuC+217], v8, v9            // Clipping f32 value if exceeds the limit
v_cndmask_b32 v6, v6, v[vgprValuC+217], s[54:55]   // 
v_cvt_pk_fp8_f32  v217, v6, v6                     // convert f32 accumulated values to fp8
buffer_store_byte v217, v215, s[sgprSrdD:sgprSrdD+3], 0, offen, offset:0 // store D
v_cvt_f32_fp8 v6, v219 src0_sel:BYTE_0   // convert fp8 in lo_byte[0] to f32
_v_mac_f32 v[vgprValuC+220], v6, s[sgprBeta]       // finalSum = sum*alpha + C*beta
v_cmp_class_f32 s[54:55], v[vgprValuC+220], v10    // check NaN and +/-INF
v_med3_f32 v6, v[vgprValuC+220], v8, v9            // Clipping f32 value if exceeds the limit
v_cndmask_b32 v6, v6, v[vgprValuC+220], s[54:55]   // 
v_cvt_pk_fp8_f32  v220, v6, v6                     // convert f32 accumulated values to fp8
buffer_store_byte v220, v218, s[sgprSrdD:sgprSrdD+3], 0, offen, offset:0 // store D
v_cvt_f32_fp8 v6, v222 src0_sel:BYTE_0   // convert fp8 in lo_byte[0] to f32
_v_mac_f32 v[vgprValuC+223], v6, s[sgprBeta]       // finalSum = sum*alpha + C*beta
v_cmp_class_f32 s[54:55], v[vgprValuC+223], v10    // check NaN and +/-INF
v_med3_f32 v6, v[vgprValuC+223], v8, v9            // Clipping f32 value if exceeds the limit
v_cndmask_b32 v6, v6, v[vgprValuC+223], s[54:55]   // 
v_cvt_pk_fp8_f32  v223, v6, v6                     // convert f32 accumulated values to fp8
buffer_store_byte v223, v221, s[sgprSrdD:sgprSrdD+3], 0, offen, offset:0 // store D
v_cvt_f32_fp8 v6, v225 src0_sel:BYTE_0   // convert fp8 in lo_byte[0] to f32
_v_mac_f32 v[vgprValuC+226], v6, s[sgprBeta]       // finalSum = sum*alpha + C*beta
v_cmp_class_f32 s[54:55], v[vgprValuC+226], v10    // check NaN and +/-INF
v_med3_f32 v6, v[vgprValuC+226], v8, v9            // Clipping f32 value if exceeds the limit
v_cndmask_b32 v6, v6, v[vgprValuC+226], s[54:55]   // 
v_cvt_pk_fp8_f32  v226, v6, v6                     // convert f32 accumulated values to fp8
buffer_store_byte v226, v224, s[sgprSrdD:sgprSrdD+3], 0, offen, offset:0 // store D
v_cvt_f32_fp8 v6, v228 src0_sel:BYTE_0   // convert fp8 in lo_byte[0] to f32
_v_mac_f32 v[vgprValuC+229], v6, s[sgprBeta]       // finalSum = sum*alpha + C*beta
v_cmp_class_f32 s[54:55], v[vgprValuC+229], v10    // check NaN and +/-INF
v_med3_f32 v6, v[vgprValuC+229], v8, v9            // Clipping f32 value if exceeds the limit
v_cndmask_b32 v6, v6, v[vgprValuC+229], s[54:55]   // 
v_cvt_pk_fp8_f32  v229, v6, v6                     // convert f32 accumulated values to fp8
buffer_store_byte v229, v227, s[sgprSrdD:sgprSrdD+3], 0, offen, offset:0 // store D
v_cvt_f32_fp8 v6, v231 src0_sel:BYTE_0   // convert fp8 in lo_byte[0] to f32
_v_mac_f32 v[vgprValuC+232], v6, s[sgprBeta]       // finalSum = sum*alpha + C*beta
v_cmp_class_f32 s[54:55], v[vgprValuC+232], v10    // check NaN and +/-INF
v_med3_f32 v6, v[vgprValuC+232], v8, v9            // Clipping f32 value if exceeds the limit
v_cndmask_b32 v6, v6, v[vgprValuC+232], s[54:55]   // 
v_cvt_pk_fp8_f32  v232, v6, v6                     // convert f32 accumulated values to fp8
buffer_store_byte v232, v230, s[sgprSrdD:sgprSrdD+3], 0, offen, offset:0 // store D
v_cvt_f32_fp8 v6, v234 src0_sel:BYTE_0   // convert fp8 in lo_byte[0] to f32
_v_mac_f32 v[vgprValuC+235], v6, s[sgprBeta]       // finalSum = sum*alpha + C*beta
v_cmp_class_f32 s[54:55], v[vgprValuC+235], v10    // check NaN and +/-INF
v_med3_f32 v6, v[vgprValuC+235], v8, v9            // Clipping f32 value if exceeds the limit
v_cndmask_b32 v6, v6, v[vgprValuC+235], s[54:55]   // 
v_cvt_pk_fp8_f32  v235, v6, v6                     // convert f32 accumulated values to fp8
buffer_store_byte v235, v233, s[sgprSrdD:sgprSrdD+3], 0, offen, offset:0 // store D
v_cvt_f32_fp8 v6, v237 src0_sel:BYTE_0   // convert fp8 in lo_byte[0] to f32
_v_mac_f32 v[vgprValuC+238], v6, s[sgprBeta]       // finalSum = sum*alpha + C*beta
v_cmp_class_f32 s[54:55], v[vgprValuC+238], v10    // check NaN and +/-INF
v_med3_f32 v6, v[vgprValuC+238], v8, v9            // Clipping f32 value if exceeds the limit
v_cndmask_b32 v6, v6, v[vgprValuC+238], s[54:55]   // 
v_cvt_pk_fp8_f32  v238, v6, v6                     // convert f32 accumulated values to fp8
buffer_store_byte v238, v236, s[sgprSrdD:sgprSrdD+3], 0, offen, offset:0 // store D
v_cvt_f32_fp8 v6, v240 src0_sel:BYTE_0   // convert fp8 in lo_byte[0] to f32
_v_mac_f32 v[vgprValuC+241], v6, s[sgprBeta]       // finalSum = sum*alpha + C*beta
v_cmp_class_f32 s[54:55], v[vgprValuC+241], v10    // check NaN and +/-INF
v_med3_f32 v6, v[vgprValuC+241], v8, v9            // Clipping f32 value if exceeds the limit
v_cndmask_b32 v6, v6, v[vgprValuC+241], s[54:55]   // 
v_cvt_pk_fp8_f32  v241, v6, v6                     // convert f32 accumulated values to fp8
buffer_store_byte v241, v239, s[sgprSrdD:sgprSrdD+3], 0, offen, offset:0 // store D
v_cvt_f32_fp8 v6, v243 src0_sel:BYTE_0   // convert fp8 in lo_byte[0] to f32
_v_mac_f32 v[vgprValuC+244], v6, s[sgprBeta]       // finalSum = sum*alpha + C*beta
v_cmp_class_f32 s[54:55], v[vgprValuC+244], v10    // check NaN and +/-INF
v_med3_f32 v6, v[vgprValuC+244], v8, v9            // Clipping f32 value if exceeds the limit
v_cndmask_b32 v6, v6, v[vgprValuC+244], s[54:55]   // 
v_cvt_pk_fp8_f32  v244, v6, v6                     // convert f32 accumulated values to fp8
buffer_store_byte v244, v242, s[sgprSrdD:sgprSrdD+3], 0, offen, offset:0 // store D
v_cvt_f32_fp8 v6, v246 src0_sel:BYTE_0   // convert fp8 in lo_byte[0] to f32
_v_mac_f32 v[vgprValuC+247], v6, s[sgprBeta]       // finalSum = sum*alpha + C*beta
v_cmp_class_f32 s[54:55], v[vgprValuC+247], v10    // check NaN and +/-INF
v_med3_f32 v6, v[vgprValuC+247], v8, v9            // Clipping f32 value if exceeds the limit
v_cndmask_b32 v6, v6, v[vgprValuC+247], s[54:55]   // 
v_cvt_pk_fp8_f32  v247, v6, v6                     // convert f32 accumulated values to fp8
buffer_store_byte v247, v245, s[sgprSrdD:sgprSrdD+3], 0, offen, offset:0 // store D
v_cvt_f32_fp8 v6, v249 src0_sel:BYTE_0   // convert fp8 in lo_byte[0] to f32
_v_mac_f32 v[vgprValuC+250], v6, s[sgprBeta]       // finalSum = sum*alpha + C*beta
v_cmp_class_f32 s[54:55], v[vgprValuC+250], v10    // check NaN and +/-INF
v_med3_f32 v6, v[vgprValuC+250], v8, v9            // Clipping f32 value if exceeds the limit
v_cndmask_b32 v6, v6, v[vgprValuC+250], s[54:55]   // 
v_cvt_pk_fp8_f32  v250, v6, v6                     // convert f32 accumulated values to fp8
buffer_store_byte v250, v248, s[sgprSrdD:sgprSrdD+3], 0, offen, offset:0 // store D
v_cvt_f32_fp8 v6, v252 src0_sel:BYTE_0   // convert fp8 in lo_byte[0] to f32
_v_mac_f32 v[vgprValuC+253], v6, s[sgprBeta]       // finalSum = sum*alpha + C*beta
v_cmp_class_f32 s[54:55], v[vgprValuC+253], v10    // check NaN and +/-INF
v_med3_f32 v6, v[vgprValuC+253], v8, v9            // Clipping f32 value if exceeds the limit
v_cndmask_b32 v6, v6, v[vgprValuC+253], s[54:55]   // 
v_cvt_pk_fp8_f32  v253, v6, v6                     // convert f32 accumulated values to fp8
buffer_store_byte v253, v251, s[sgprSrdD:sgprSrdD+3], 0, offen, offset:0 // store D
s_nop 0                                            // 1 wait state required when next inst writes vgprs held by previous dwordx4 store inst
/* optSingleColVgpr=0 optSharedColVgpr=0 optSGPRUsage=BufferLoad_Edge_Mask optSrdIncForRow=0 */

/******************************************/
/* Global Write Alpha Beta Edge Batch #1 (d1,d0,vc1,vc0) = */
/*    (2,0,8,0:vw1); (2,0,8,1:vw1); (2,0,9,0:vw1); (2,0,9,1:vw1); (2,0,10,0:vw1); (2,0,10,1:vw1); (2,0,11,0:vw1); (2,0,11,1:vw1); (2,0,12,0:vw1); (2,0,12,1:vw1); (2,0,13,0:vw1); (2,0,13,1:vw1); (2,0,14,0:vw1); (2,0,14,1:vw1); (2,0,15,0:vw1); (2,0,15,1:vw1); (3,0,0,0:vw1); (3,0,0,1:vw1); (3,0,1,0:vw1); (3,0,1,1:vw1); (3,0,2,0:vw1); (3,0,2,1:vw1); (3,0,3,0:vw1); (3,0,3,1:vw1); (3,0,4,0:vw1); (3,0,4,1:vw1); (3,0,5,0:vw1); (3,0,5,1:vw1); (3,0,6,0:vw1); (3,0,6,1:vw1); (3,0,7,0:vw1); (3,0,7,1:vw1); (3,0,8,0:vw1); (3,0,8,1:vw1); (3,0,9,0:vw1); (3,0,9,1:vw1); (3,0,10,0:vw1); (3,0,10,1:vw1); (3,0,11,0:vw1); (3,0,11,1:vw1); (3,0,12,0:vw1); (3,0,12,1:vw1); (3,0,13,0:vw1); (3,0,13,1:vw1); (3,0,14,0:vw1); (3,0,14,1:vw1); (3,0,15,0:vw1); (3,0,15,1:vw1); (4,0,0,0:vw1); (4,0,0,1:vw1); (4,0,1,0:vw1); (4,0,1,1:vw1); (4,0,2,0:vw1); (4,0,2,1:vw1); (4,0,3,0:vw1); (4,0,3,1:vw1); (4,0,4,0:vw1); (4,0,4,1:vw1); (4,0,5,0:vw1); (4,0,5,1:vw1); (4,0,6,0:vw1); (4,0,6,1:vw1); (4,0,7,0:vw1); (4,0,7,1:vw1); (4,0,8,0:vw1); (4,0,8,1:vw1); (4,0,9,0:vw1); (4,0,9,1:vw1); (4,0,10,0:vw1); (4,0,10,1:vw1); (4,0,11,0:vw1); (4,0,11,1:vw1); (4,0,12,0:vw1); (4,0,12,1:vw1); (4,0,13,0:vw1); (4,0,13,1:vw1); (4,0,14,0:vw1); (4,0,14,1:vw1); (4,0,15,0:vw1); (4,0,15,1:vw1) */
/******************************************/

/* calc coords, apply mask, and issue loads (if necessary) */
/* (d1,vc1,d0,vc0)=(2,8,0,0) */
_v_add_co_u32 v1, vcc, v1, 1                       // coord1.1: coord1Vgpr += d1*sg1*VW + vc1

/* Fix for UseInitialStridesCD, emitAddressSetupCode */
_v_add_u32 v2, v2, s[sgprStrideC1J]                // ROWINC- Move cinRowPtr to next row
_v_add_u32 v3, v3, s[sgprStrideD1J]                // Move coutRowPtr to next row
v_cmp_lt_u32 s[54:55], v0, s[sgprSizeI]            // coord0 < size0
v_cmp_lt_u32 s[58:59], v1, s[sgprSizeJ]            // coord1 < size1
s_and_b64 s[58:59], s[54:55], s[58:59]             // in0 && in1
_v_add_lshl_u32 v11, v2, v0, 0x0                   // scaleToBpe: accumulate d0 lower and *= bpe into Cin addr
v_cndmask_b32 v11, -1, v11, s[58:59]               // LDC clip if OOB. offset
buffer_load_ubyte v12, v11, s[sgprSrdC:sgprSrdC+3], 0, offen offset:0 // load C for beta calc
_v_add_lshl_u32 v11, v3, v0, 0x0                   // scaleToBpe: accumulate d0 lower and *= bpe into Cin addr
v_cndmask_b32 v11, -1, v11, s[58:59]               // LDD clip if OOB. offset
/* (d1,vc1,d0,vc0)=(2,8,0,1) */
_v_add_co_u32 v4, vcc, v0, 1                       // coord0.1: coord0 += d0*sg0*VW + vc0
v_cmp_lt_u32 s[54:55], v4, s[sgprSizeI]            // coord0 < size0
v_cmp_lt_u32 s[58:59], v1, s[sgprSizeJ]            // coord1 < size1
s_and_b64 s[58:59], s[54:55], s[58:59]             // in0 && in1
_v_add_lshl_u32 v14, v2, v4, 0x0                   // scaleToBpe: accumulate d0 lower and *= bpe into Cin addr
v_cndmask_b32 v14, -1, v14, s[58:59]               // LDC clip if OOB. offset
buffer_load_ubyte v15, v14, s[sgprSrdC:sgprSrdC+3], 0, offen offset:0 // load C for beta calc
_v_add_lshl_u32 v14, v3, v4, 0x0                   // scaleToBpe: accumulate d0 lower and *= bpe into Cin addr
v_cndmask_b32 v14, -1, v14, s[58:59]               // LDD clip if OOB. offset
/* (d1,vc1,d0,vc0)=(2,9,0,0) */
_v_add_co_u32 v1, vcc, v1, 1                       // coord1.1: coord1Vgpr += d1*sg1*VW + vc1

/* Fix for UseInitialStridesCD, emitAddressSetupCode */
_v_add_u32 v2, v2, s[sgprStrideC1J]                // ROWINC- Move cinRowPtr to next row
_v_add_u32 v3, v3, s[sgprStrideD1J]                // Move coutRowPtr to next row
v_cmp_lt_u32 s[54:55], v0, s[sgprSizeI]            // coord0 < size0
v_cmp_lt_u32 s[58:59], v1, s[sgprSizeJ]            // coord1 < size1
s_and_b64 s[58:59], s[54:55], s[58:59]             // in0 && in1
_v_add_lshl_u32 v17, v2, v0, 0x0                   // scaleToBpe: accumulate d0 lower and *= bpe into Cin addr
v_cndmask_b32 v17, -1, v17, s[58:59]               // LDC clip if OOB. offset
buffer_load_ubyte v18, v17, s[sgprSrdC:sgprSrdC+3], 0, offen offset:0 // load C for beta calc
_v_add_lshl_u32 v17, v3, v0, 0x0                   // scaleToBpe: accumulate d0 lower and *= bpe into Cin addr
v_cndmask_b32 v17, -1, v17, s[58:59]               // LDD clip if OOB. offset
/* (d1,vc1,d0,vc0)=(2,9,0,1) */
_v_add_co_u32 v4, vcc, v0, 1                       // coord0.1: coord0 += d0*sg0*VW + vc0
v_cmp_lt_u32 s[54:55], v4, s[sgprSizeI]            // coord0 < size0
v_cmp_lt_u32 s[58:59], v1, s[sgprSizeJ]            // coord1 < size1
s_and_b64 s[58:59], s[54:55], s[58:59]             // in0 && in1
_v_add_lshl_u32 v20, v2, v4, 0x0                   // scaleToBpe: accumulate d0 lower and *= bpe into Cin addr
v_cndmask_b32 v20, -1, v20, s[58:59]               // LDC clip if OOB. offset
buffer_load_ubyte v21, v20, s[sgprSrdC:sgprSrdC+3], 0, offen offset:0 // load C for beta calc
_v_add_lshl_u32 v20, v3, v4, 0x0                   // scaleToBpe: accumulate d0 lower and *= bpe into Cin addr
v_cndmask_b32 v20, -1, v20, s[58:59]               // LDD clip if OOB. offset
	;; [unrolled: 24-line block ×8, first 2 shown]
/* (d1,vc1,d0,vc0)=(3,0,0,0) */
_v_add_co_u32 v1, vcc, v1, 17                      // coord1.1: coord1Vgpr += d1*sg1*VW + vc1

/* Fix for UseInitialStridesCD, emitAddressSetupCode */
s_mul_i32 s54, s[sgprStrideC1J], 17                // scale stride
_v_add_u32 v2, v2, s54                             // ROWINC- Move cinRowPtr to next row
s_mul_i32 s54, s[sgprStrideD1J], 17                // scale stride
_v_add_u32 v3, v3, s54                             // Move coutRowPtr to next row
v_cmp_lt_u32 s[54:55], v0, s[sgprSizeI]            // coord0 < size0
v_cmp_lt_u32 s[58:59], v1, s[sgprSizeJ]            // coord1 < size1
s_and_b64 s[58:59], s[54:55], s[58:59]             // in0 && in1
_v_add_lshl_u32 v59, v2, v0, 0x0                   // scaleToBpe: accumulate d0 lower and *= bpe into Cin addr
v_cndmask_b32 v59, -1, v59, s[58:59]               // LDC clip if OOB. offset
buffer_load_ubyte v60, v59, s[sgprSrdC:sgprSrdC+3], 0, offen offset:0 // load C for beta calc
_v_add_lshl_u32 v59, v3, v0, 0x0                   // scaleToBpe: accumulate d0 lower and *= bpe into Cin addr
v_cndmask_b32 v59, -1, v59, s[58:59]               // LDD clip if OOB. offset
/* (d1,vc1,d0,vc0)=(3,0,0,1) */
_v_add_co_u32 v4, vcc, v0, 1                       // coord0.1: coord0 += d0*sg0*VW + vc0
v_cmp_lt_u32 s[54:55], v4, s[sgprSizeI]            // coord0 < size0
v_cmp_lt_u32 s[58:59], v1, s[sgprSizeJ]            // coord1 < size1
s_and_b64 s[58:59], s[54:55], s[58:59]             // in0 && in1
_v_add_lshl_u32 v62, v2, v4, 0x0                   // scaleToBpe: accumulate d0 lower and *= bpe into Cin addr
v_cndmask_b32 v62, -1, v62, s[58:59]               // LDC clip if OOB. offset
buffer_load_ubyte v63, v62, s[sgprSrdC:sgprSrdC+3], 0, offen offset:0 // load C for beta calc
_v_add_lshl_u32 v62, v3, v4, 0x0                   // scaleToBpe: accumulate d0 lower and *= bpe into Cin addr
v_cndmask_b32 v62, -1, v62, s[58:59]               // LDD clip if OOB. offset
/* (d1,vc1,d0,vc0)=(3,1,0,0) */
_v_add_co_u32 v1, vcc, v1, 1                       // coord1.1: coord1Vgpr += d1*sg1*VW + vc1

/* Fix for UseInitialStridesCD, emitAddressSetupCode */
_v_add_u32 v2, v2, s[sgprStrideC1J]                // ROWINC- Move cinRowPtr to next row
_v_add_u32 v3, v3, s[sgprStrideD1J]                // Move coutRowPtr to next row
v_cmp_lt_u32 s[54:55], v0, s[sgprSizeI]            // coord0 < size0
v_cmp_lt_u32 s[58:59], v1, s[sgprSizeJ]            // coord1 < size1
s_and_b64 s[58:59], s[54:55], s[58:59]             // in0 && in1
_v_add_lshl_u32 v65, v2, v0, 0x0                   // scaleToBpe: accumulate d0 lower and *= bpe into Cin addr
v_cndmask_b32 v65, -1, v65, s[58:59]               // LDC clip if OOB. offset
buffer_load_ubyte v66, v65, s[sgprSrdC:sgprSrdC+3], 0, offen offset:0 // load C for beta calc
_v_add_lshl_u32 v65, v3, v0, 0x0                   // scaleToBpe: accumulate d0 lower and *= bpe into Cin addr
v_cndmask_b32 v65, -1, v65, s[58:59]               // LDD clip if OOB. offset
/* (d1,vc1,d0,vc0)=(3,1,0,1) */
_v_add_co_u32 v4, vcc, v0, 1                       // coord0.1: coord0 += d0*sg0*VW + vc0
v_cmp_lt_u32 s[54:55], v4, s[sgprSizeI]            // coord0 < size0
v_cmp_lt_u32 s[58:59], v1, s[sgprSizeJ]            // coord1 < size1
s_and_b64 s[58:59], s[54:55], s[58:59]             // in0 && in1
_v_add_lshl_u32 v68, v2, v4, 0x0                   // scaleToBpe: accumulate d0 lower and *= bpe into Cin addr
v_cndmask_b32 v68, -1, v68, s[58:59]               // LDC clip if OOB. offset
buffer_load_ubyte v69, v68, s[sgprSrdC:sgprSrdC+3], 0, offen offset:0 // load C for beta calc
_v_add_lshl_u32 v68, v3, v4, 0x0                   // scaleToBpe: accumulate d0 lower and *= bpe into Cin addr
v_cndmask_b32 v68, -1, v68, s[58:59]               // LDD clip if OOB. offset
/* (d1,vc1,d0,vc0)=(3,2,0,0) */
_v_add_co_u32 v1, vcc, v1, 1                       // coord1.1: coord1Vgpr += d1*sg1*VW + vc1

/* Fix for UseInitialStridesCD, emitAddressSetupCode */
_v_add_u32 v2, v2, s[sgprStrideC1J]                // ROWINC- Move cinRowPtr to next row
_v_add_u32 v3, v3, s[sgprStrideD1J]                // Move coutRowPtr to next row
	;; [unrolled: 24-line block ×7, first 2 shown]
v_cmp_lt_u32 s[54:55], v0, s[sgprSizeI]            // coord0 < size0
v_cmp_lt_u32 s[58:59], v1, s[sgprSizeJ]            // coord1 < size1
s_and_b64 s[58:59], s[54:55], s[58:59]             // in0 && in1
_v_add_lshl_u32 v101, v2, v0, 0x0                  // scaleToBpe: accumulate d0 lower and *= bpe into Cin addr
v_cndmask_b32 v101, -1, v101, s[58:59]             // LDC clip if OOB. offset
buffer_load_ubyte v102, v101, s[sgprSrdC:sgprSrdC+3], 0, offen offset:0 // load C for beta calc
_v_add_lshl_u32 v101, v3, v0, 0x0                  // scaleToBpe: accumulate d0 lower and *= bpe into Cin addr
v_cndmask_b32 v101, -1, v101, s[58:59]             // LDD clip if OOB. offset
/* (d1,vc1,d0,vc0)=(3,7,0,1) */
_v_add_co_u32 v4, vcc, v0, 1                       // coord0.1: coord0 += d0*sg0*VW + vc0
v_cmp_lt_u32 s[54:55], v4, s[sgprSizeI]            // coord0 < size0
v_cmp_lt_u32 s[58:59], v1, s[sgprSizeJ]            // coord1 < size1
s_and_b64 s[58:59], s[54:55], s[58:59]             // in0 && in1
_v_add_lshl_u32 v104, v2, v4, 0x0                  // scaleToBpe: accumulate d0 lower and *= bpe into Cin addr
v_cndmask_b32 v104, -1, v104, s[58:59]             // LDC clip if OOB. offset
buffer_load_ubyte v105, v104, s[sgprSrdC:sgprSrdC+3], 0, offen offset:0 // load C for beta calc
_v_add_lshl_u32 v104, v3, v4, 0x0                  // scaleToBpe: accumulate d0 lower and *= bpe into Cin addr
v_cndmask_b32 v104, -1, v104, s[58:59]             // LDD clip if OOB. offset
/* (d1,vc1,d0,vc0)=(3,8,0,0) */
_v_add_co_u32 v1, vcc, v1, 1                       // coord1.1: coord1Vgpr += d1*sg1*VW + vc1

/* Fix for UseInitialStridesCD, emitAddressSetupCode */
_v_add_u32 v2, v2, s[sgprStrideC1J]                // ROWINC- Move cinRowPtr to next row
_v_add_u32 v3, v3, s[sgprStrideD1J]                // Move coutRowPtr to next row
v_cmp_lt_u32 s[54:55], v0, s[sgprSizeI]            // coord0 < size0
v_cmp_lt_u32 s[58:59], v1, s[sgprSizeJ]            // coord1 < size1
s_and_b64 s[58:59], s[54:55], s[58:59]             // in0 && in1
_v_add_lshl_u32 v107, v2, v0, 0x0                  // scaleToBpe: accumulate d0 lower and *= bpe into Cin addr
v_cndmask_b32 v107, -1, v107, s[58:59]             // LDC clip if OOB. offset
buffer_load_ubyte v108, v107, s[sgprSrdC:sgprSrdC+3], 0, offen offset:0 // load C for beta calc
_v_add_lshl_u32 v107, v3, v0, 0x0                  // scaleToBpe: accumulate d0 lower and *= bpe into Cin addr
v_cndmask_b32 v107, -1, v107, s[58:59]             // LDD clip if OOB. offset
/* (d1,vc1,d0,vc0)=(3,8,0,1) */
_v_add_co_u32 v4, vcc, v0, 1                       // coord0.1: coord0 += d0*sg0*VW + vc0
v_cmp_lt_u32 s[54:55], v4, s[sgprSizeI]            // coord0 < size0
v_cmp_lt_u32 s[58:59], v1, s[sgprSizeJ]            // coord1 < size1
s_and_b64 s[58:59], s[54:55], s[58:59]             // in0 && in1
_v_add_lshl_u32 v110, v2, v4, 0x0                  // scaleToBpe: accumulate d0 lower and *= bpe into Cin addr
v_cndmask_b32 v110, -1, v110, s[58:59]             // LDC clip if OOB. offset
buffer_load_ubyte v111, v110, s[sgprSrdC:sgprSrdC+3], 0, offen offset:0 // load C for beta calc
_v_add_lshl_u32 v110, v3, v4, 0x0                  // scaleToBpe: accumulate d0 lower and *= bpe into Cin addr
v_cndmask_b32 v110, -1, v110, s[58:59]             // LDD clip if OOB. offset
/* (d1,vc1,d0,vc0)=(3,9,0,0) */
_v_add_co_u32 v1, vcc, v1, 1                       // coord1.1: coord1Vgpr += d1*sg1*VW + vc1

/* Fix for UseInitialStridesCD, emitAddressSetupCode */
_v_add_u32 v2, v2, s[sgprStrideC1J]                // ROWINC- Move cinRowPtr to next row
_v_add_u32 v3, v3, s[sgprStrideD1J]                // Move coutRowPtr to next row
	;; [unrolled: 24-line block ×8, first 2 shown]
v_cmp_lt_u32 s[54:55], v0, s[sgprSizeI]            // coord0 < size0
v_cmp_lt_u32 s[58:59], v1, s[sgprSizeJ]            // coord1 < size1
s_and_b64 s[58:59], s[54:55], s[58:59]             // in0 && in1
_v_add_lshl_u32 v152, v2, v0, 0x0                  // scaleToBpe: accumulate d0 lower and *= bpe into Cin addr
v_cndmask_b32 v152, -1, v152, s[58:59]             // LDC clip if OOB. offset
buffer_load_ubyte v153, v152, s[sgprSrdC:sgprSrdC+3], 0, offen offset:0 // load C for beta calc
_v_add_lshl_u32 v152, v3, v0, 0x0                  // scaleToBpe: accumulate d0 lower and *= bpe into Cin addr
v_cndmask_b32 v152, -1, v152, s[58:59]             // LDD clip if OOB. offset
/* (d1,vc1,d0,vc0)=(3,15,0,1) */
_v_add_co_u32 v4, vcc, v0, 1                       // coord0.1: coord0 += d0*sg0*VW + vc0
v_cmp_lt_u32 s[54:55], v4, s[sgprSizeI]            // coord0 < size0
v_cmp_lt_u32 s[58:59], v1, s[sgprSizeJ]            // coord1 < size1
s_and_b64 s[58:59], s[54:55], s[58:59]             // in0 && in1
_v_add_lshl_u32 v155, v2, v4, 0x0                  // scaleToBpe: accumulate d0 lower and *= bpe into Cin addr
v_cndmask_b32 v155, -1, v155, s[58:59]             // LDC clip if OOB. offset
buffer_load_ubyte v156, v155, s[sgprSrdC:sgprSrdC+3], 0, offen offset:0 // load C for beta calc
_v_add_lshl_u32 v155, v3, v4, 0x0                  // scaleToBpe: accumulate d0 lower and *= bpe into Cin addr
v_cndmask_b32 v155, -1, v155, s[58:59]             // LDD clip if OOB. offset
/* (d1,vc1,d0,vc0)=(4,0,0,0) */
_v_add_co_u32 v1, vcc, v1, 17                      // coord1.1: coord1Vgpr += d1*sg1*VW + vc1

/* Fix for UseInitialStridesCD, emitAddressSetupCode */
s_mul_i32 s54, s[sgprStrideC1J], 17                // scale stride
_v_add_u32 v2, v2, s54                             // ROWINC- Move cinRowPtr to next row
s_mul_i32 s54, s[sgprStrideD1J], 17                // scale stride
_v_add_u32 v3, v3, s54                             // Move coutRowPtr to next row
v_cmp_lt_u32 s[54:55], v0, s[sgprSizeI]            // coord0 < size0
v_cmp_lt_u32 s[58:59], v1, s[sgprSizeJ]            // coord1 < size1
s_and_b64 s[58:59], s[54:55], s[58:59]             // in0 && in1
_v_add_lshl_u32 v158, v2, v0, 0x0                  // scaleToBpe: accumulate d0 lower and *= bpe into Cin addr
v_cndmask_b32 v158, -1, v158, s[58:59]             // LDC clip if OOB. offset
buffer_load_ubyte v159, v158, s[sgprSrdC:sgprSrdC+3], 0, offen offset:0 // load C for beta calc
_v_add_lshl_u32 v158, v3, v0, 0x0                  // scaleToBpe: accumulate d0 lower and *= bpe into Cin addr
v_cndmask_b32 v158, -1, v158, s[58:59]             // LDD clip if OOB. offset
/* (d1,vc1,d0,vc0)=(4,0,0,1) */
_v_add_co_u32 v4, vcc, v0, 1                       // coord0.1: coord0 += d0*sg0*VW + vc0
v_cmp_lt_u32 s[54:55], v4, s[sgprSizeI]            // coord0 < size0
v_cmp_lt_u32 s[58:59], v1, s[sgprSizeJ]            // coord1 < size1
s_and_b64 s[58:59], s[54:55], s[58:59]             // in0 && in1
_v_add_lshl_u32 v161, v2, v4, 0x0                  // scaleToBpe: accumulate d0 lower and *= bpe into Cin addr
v_cndmask_b32 v161, -1, v161, s[58:59]             // LDC clip if OOB. offset
buffer_load_ubyte v162, v161, s[sgprSrdC:sgprSrdC+3], 0, offen offset:0 // load C for beta calc
_v_add_lshl_u32 v161, v3, v4, 0x0                  // scaleToBpe: accumulate d0 lower and *= bpe into Cin addr
v_cndmask_b32 v161, -1, v161, s[58:59]             // LDD clip if OOB. offset
/* (d1,vc1,d0,vc0)=(4,1,0,0) */
_v_add_co_u32 v1, vcc, v1, 1                       // coord1.1: coord1Vgpr += d1*sg1*VW + vc1

/* Fix for UseInitialStridesCD, emitAddressSetupCode */
_v_add_u32 v2, v2, s[sgprStrideC1J]                // ROWINC- Move cinRowPtr to next row
_v_add_u32 v3, v3, s[sgprStrideD1J]                // Move coutRowPtr to next row
v_cmp_lt_u32 s[54:55], v0, s[sgprSizeI]            // coord0 < size0
v_cmp_lt_u32 s[58:59], v1, s[sgprSizeJ]            // coord1 < size1
s_and_b64 s[58:59], s[54:55], s[58:59]             // in0 && in1
_v_add_lshl_u32 v164, v2, v0, 0x0                  // scaleToBpe: accumulate d0 lower and *= bpe into Cin addr
v_cndmask_b32 v164, -1, v164, s[58:59]             // LDC clip if OOB. offset
buffer_load_ubyte v165, v164, s[sgprSrdC:sgprSrdC+3], 0, offen offset:0 // load C for beta calc
_v_add_lshl_u32 v164, v3, v0, 0x0                  // scaleToBpe: accumulate d0 lower and *= bpe into Cin addr
v_cndmask_b32 v164, -1, v164, s[58:59]             // LDD clip if OOB. offset
/* (d1,vc1,d0,vc0)=(4,1,0,1) */
_v_add_co_u32 v4, vcc, v0, 1                       // coord0.1: coord0 += d0*sg0*VW + vc0
v_cmp_lt_u32 s[54:55], v4, s[sgprSizeI]            // coord0 < size0
v_cmp_lt_u32 s[58:59], v1, s[sgprSizeJ]            // coord1 < size1
s_and_b64 s[58:59], s[54:55], s[58:59]             // in0 && in1
_v_add_lshl_u32 v167, v2, v4, 0x0                  // scaleToBpe: accumulate d0 lower and *= bpe into Cin addr
v_cndmask_b32 v167, -1, v167, s[58:59]             // LDC clip if OOB. offset
buffer_load_ubyte v168, v167, s[sgprSrdC:sgprSrdC+3], 0, offen offset:0 // load C for beta calc
_v_add_lshl_u32 v167, v3, v4, 0x0                  // scaleToBpe: accumulate d0 lower and *= bpe into Cin addr
v_cndmask_b32 v167, -1, v167, s[58:59]             // LDD clip if OOB. offset
/* (d1,vc1,d0,vc0)=(4,2,0,0) */
_v_add_co_u32 v1, vcc, v1, 1                       // coord1.1: coord1Vgpr += d1*sg1*VW + vc1

/* Fix for UseInitialStridesCD, emitAddressSetupCode */
_v_add_u32 v2, v2, s[sgprStrideC1J]                // ROWINC- Move cinRowPtr to next row
_v_add_u32 v3, v3, s[sgprStrideD1J]                // Move coutRowPtr to next row
	;; [unrolled: 24-line block ×15, first 2 shown]
v_cmp_lt_u32 s[54:55], v0, s[sgprSizeI]            // coord0 < size0
v_cmp_lt_u32 s[58:59], v1, s[sgprSizeJ]            // coord1 < size1
s_and_b64 s[58:59], s[54:55], s[58:59]             // in0 && in1
_v_add_lshl_u32 v248, v2, v0, 0x0                  // scaleToBpe: accumulate d0 lower and *= bpe into Cin addr
v_cndmask_b32 v248, -1, v248, s[58:59]             // LDC clip if OOB. offset
buffer_load_ubyte v249, v248, s[sgprSrdC:sgprSrdC+3], 0, offen offset:0 // load C for beta calc
_v_add_lshl_u32 v248, v3, v0, 0x0                  // scaleToBpe: accumulate d0 lower and *= bpe into Cin addr
v_cndmask_b32 v248, -1, v248, s[58:59]             // LDD clip if OOB. offset
/* (d1,vc1,d0,vc0)=(4,15,0,1) */
_v_add_co_u32 v4, vcc, v0, 1                       // coord0.1: coord0 += d0*sg0*VW + vc0
v_cmp_lt_u32 s[54:55], v4, s[sgprSizeI]            // coord0 < size0
v_cmp_lt_u32 s[58:59], v1, s[sgprSizeJ]            // coord1 < size1
s_and_b64 s[58:59], s[54:55], s[58:59]             // in0 && in1
_v_add_lshl_u32 v251, v2, v4, 0x0                  // scaleToBpe: accumulate d0 lower and *= bpe into Cin addr
v_cndmask_b32 v251, -1, v251, s[58:59]             // LDC clip if OOB. offset
buffer_load_ubyte v252, v251, s[sgprSrdC:sgprSrdC+3], 0, offen offset:0 // load C for beta calc
_v_add_lshl_u32 v251, v3, v4, 0x0                  // scaleToBpe: accumulate d0 lower and *= bpe into Cin addr
v_cndmask_b32 v251, -1, v251, s[58:59]             // LDD clip if OOB. offset
v_accvgpr_read_b32 v[vgprValuC+13], acc10 // copy acc to vreg[80]
v_accvgpr_read_b32 v[vgprValuC+16], acc26 // copy acc to vreg[81]
v_accvgpr_read_b32 v[vgprValuC+19], acc42 // copy acc to vreg[82]
v_accvgpr_read_b32 v[vgprValuC+22], acc58 // copy acc to vreg[83]
v_accvgpr_read_b32 v[vgprValuC+25], acc74 // copy acc to vreg[84]
v_accvgpr_read_b32 v[vgprValuC+28], acc90 // copy acc to vreg[85]
v_accvgpr_read_b32 v[vgprValuC+31], acc106 // copy acc to vreg[86]
v_accvgpr_read_b32 v[vgprValuC+34], acc122 // copy acc to vreg[87]
v_accvgpr_read_b32 v[vgprValuC+37], acc11 // copy acc to vreg[88]
v_accvgpr_read_b32 v[vgprValuC+40], acc27 // copy acc to vreg[89]
v_accvgpr_read_b32 v[vgprValuC+43], acc43 // copy acc to vreg[90]
v_accvgpr_read_b32 v[vgprValuC+46], acc59 // copy acc to vreg[91]
v_accvgpr_read_b32 v[vgprValuC+49], acc75 // copy acc to vreg[92]
v_accvgpr_read_b32 v[vgprValuC+52], acc91 // copy acc to vreg[93]
v_accvgpr_read_b32 v[vgprValuC+55], acc107 // copy acc to vreg[94]
v_accvgpr_read_b32 v[vgprValuC+58], acc123 // copy acc to vreg[95]
v_accvgpr_read_b32 v[vgprValuC+61], acc12 // copy acc to vreg[96]
v_accvgpr_read_b32 v[vgprValuC+64], acc28 // copy acc to vreg[97]
v_accvgpr_read_b32 v[vgprValuC+67], acc44 // copy acc to vreg[98]
v_accvgpr_read_b32 v[vgprValuC+70], acc60 // copy acc to vreg[99]
v_accvgpr_read_b32 v[vgprValuC+73], acc76 // copy acc to vreg[100]
v_accvgpr_read_b32 v[vgprValuC+76], acc92 // copy acc to vreg[101]
v_accvgpr_read_b32 v[vgprValuC+79], acc108 // copy acc to vreg[102]
v_accvgpr_read_b32 v[vgprValuC+82], acc124 // copy acc to vreg[103]
v_accvgpr_read_b32 v[vgprValuC+85], acc13 // copy acc to vreg[104]
v_accvgpr_read_b32 v[vgprValuC+88], acc29 // copy acc to vreg[105]
v_accvgpr_read_b32 v[vgprValuC+91], acc45 // copy acc to vreg[106]
v_accvgpr_read_b32 v[vgprValuC+94], acc61 // copy acc to vreg[107]
v_accvgpr_read_b32 v[vgprValuC+97], acc77 // copy acc to vreg[108]
v_accvgpr_read_b32 v[vgprValuC+100], acc93 // copy acc to vreg[109]
v_accvgpr_read_b32 v[vgprValuC+103], acc109 // copy acc to vreg[110]
v_accvgpr_read_b32 v[vgprValuC+106], acc125 // copy acc to vreg[111]
v_accvgpr_read_b32 v[vgprValuC+109], acc14 // copy acc to vreg[112]
v_accvgpr_read_b32 v[vgprValuC+112], acc30 // copy acc to vreg[113]
v_accvgpr_read_b32 v[vgprValuC+115], acc46 // copy acc to vreg[114]
v_accvgpr_read_b32 v[vgprValuC+121], acc62 // copy acc to vreg[115]
v_accvgpr_read_b32 v[vgprValuC+124], acc78 // copy acc to vreg[116]
v_accvgpr_read_b32 v[vgprValuC+127], acc94 // copy acc to vreg[117]
v_accvgpr_read_b32 v[vgprValuC+130], acc110 // copy acc to vreg[118]
v_accvgpr_read_b32 v[vgprValuC+133], acc126 // copy acc to vreg[119]
v_accvgpr_read_b32 v[vgprValuC+136], acc15 // copy acc to vreg[120]
v_accvgpr_read_b32 v[vgprValuC+139], acc31 // copy acc to vreg[121]
v_accvgpr_read_b32 v[vgprValuC+142], acc47 // copy acc to vreg[122]
v_accvgpr_read_b32 v[vgprValuC+145], acc63 // copy acc to vreg[123]
v_accvgpr_read_b32 v[vgprValuC+148], acc79 // copy acc to vreg[124]
v_accvgpr_read_b32 v[vgprValuC+151], acc95 // copy acc to vreg[125]
v_accvgpr_read_b32 v[vgprValuC+154], acc111 // copy acc to vreg[126]
v_accvgpr_read_b32 v[vgprValuC+157], acc127 // copy acc to vreg[127]
v_accvgpr_read_b32 v[vgprValuC+160], acc128 // copy acc to vreg[128]
v_accvgpr_read_b32 v[vgprValuC+163], acc144 // copy acc to vreg[129]
v_accvgpr_read_b32 v[vgprValuC+166], acc160 // copy acc to vreg[130]
v_accvgpr_read_b32 v[vgprValuC+169], acc176 // copy acc to vreg[131]
v_accvgpr_read_b32 v[vgprValuC+172], acc192 // copy acc to vreg[132]
v_accvgpr_read_b32 v[vgprValuC+175], acc208 // copy acc to vreg[133]
v_accvgpr_read_b32 v[vgprValuC+178], acc224 // copy acc to vreg[134]
v_accvgpr_read_b32 v[vgprValuC+181], acc240 // copy acc to vreg[135]
v_accvgpr_read_b32 v[vgprValuC+184], acc129 // copy acc to vreg[136]
v_accvgpr_read_b32 v[vgprValuC+187], acc145 // copy acc to vreg[137]
v_accvgpr_read_b32 v[vgprValuC+190], acc161 // copy acc to vreg[138]
v_accvgpr_read_b32 v[vgprValuC+193], acc177 // copy acc to vreg[139]
v_accvgpr_read_b32 v[vgprValuC+196], acc193 // copy acc to vreg[140]
v_accvgpr_read_b32 v[vgprValuC+199], acc209 // copy acc to vreg[141]
v_accvgpr_read_b32 v[vgprValuC+202], acc225 // copy acc to vreg[142]
v_accvgpr_read_b32 v[vgprValuC+205], acc241 // copy acc to vreg[143]
v_accvgpr_read_b32 v[vgprValuC+208], acc130 // copy acc to vreg[144]
v_accvgpr_read_b32 v[vgprValuC+211], acc146 // copy acc to vreg[145]
v_accvgpr_read_b32 v[vgprValuC+214], acc162 // copy acc to vreg[146]
v_accvgpr_read_b32 v[vgprValuC+217], acc178 // copy acc to vreg[147]
v_accvgpr_read_b32 v[vgprValuC+220], acc194 // copy acc to vreg[148]
v_accvgpr_read_b32 v[vgprValuC+223], acc210 // copy acc to vreg[149]
v_accvgpr_read_b32 v[vgprValuC+226], acc226 // copy acc to vreg[150]
v_accvgpr_read_b32 v[vgprValuC+229], acc242 // copy acc to vreg[151]
v_accvgpr_read_b32 v[vgprValuC+232], acc131 // copy acc to vreg[152]
v_accvgpr_read_b32 v[vgprValuC+235], acc147 // copy acc to vreg[153]
v_accvgpr_read_b32 v[vgprValuC+238], acc163 // copy acc to vreg[154]
v_accvgpr_read_b32 v[vgprValuC+241], acc179 // copy acc to vreg[155]
v_accvgpr_read_b32 v[vgprValuC+244], acc195 // copy acc to vreg[156]
v_accvgpr_read_b32 v[vgprValuC+247], acc211 // copy acc to vreg[157]
v_accvgpr_read_b32 v[vgprValuC+250], acc227 // copy acc to vreg[158]
v_accvgpr_read_b32 v[vgprValuC+253], acc243 // copy acc to vreg[159]
s_nop 1                                            // 2 wait states required before reading vgpr

/* rC *= alpha batchElements=[(2, 0, 8, 0), (2, 0, 8, 1), (2, 0, 9, 0), (2, 0, 9, 1), (2, 0, 10, 0), (2, 0, 10, 1), (2, 0, 11, 0), (2, 0, 11, 1), (2, 0, 12, 0), (2, 0, 12, 1), (2, 0, 13, 0), (2, 0, 13, 1), (2, 0, 14, 0), (2, 0, 14, 1), (2, 0, 15, 0), (2, 0, 15, 1), (3, 0, 0, 0), (3, 0, 0, 1), (3, 0, 1, 0), (3, 0, 1, 1), (3, 0, 2, 0), (3, 0, 2, 1), (3, 0, 3, 0), (3, 0, 3, 1), (3, 0, 4, 0), (3, 0, 4, 1), (3, 0, 5, 0), (3, 0, 5, 1), (3, 0, 6, 0), (3, 0, 6, 1), (3, 0, 7, 0), (3, 0, 7, 1), (3, 0, 8, 0), (3, 0, 8, 1), (3, 0, 9, 0), (3, 0, 9, 1), (3, 0, 10, 0), (3, 0, 10, 1), (3, 0, 11, 0), (3, 0, 11, 1), (3, 0, 12, 0), (3, 0, 12, 1), (3, 0, 13, 0), (3, 0, 13, 1), (3, 0, 14, 0), (3, 0, 14, 1), (3, 0, 15, 0), (3, 0, 15, 1), (4, 0, 0, 0), (4, 0, 0, 1), (4, 0, 1, 0), (4, 0, 1, 1), (4, 0, 2, 0), (4, 0, 2, 1), (4, 0, 3, 0), (4, 0, 3, 1), (4, 0, 4, 0), (4, 0, 4, 1), (4, 0, 5, 0), (4, 0, 5, 1), (4, 0, 6, 0), (4, 0, 6, 1), (4, 0, 7, 0), (4, 0, 7, 1), (4, 0, 8, 0), (4, 0, 8, 1), (4, 0, 9, 0), (4, 0, 9, 1), (4, 0, 10, 0), (4, 0, 10, 1), (4, 0, 11, 0), (4, 0, 11, 1), (4, 0, 12, 0), (4, 0, 12, 1), (4, 0, 13, 0), (4, 0, 13, 1), (4, 0, 14, 0), (4, 0, 14, 1), (4, 0, 15, 0), (4, 0, 15, 1)] */
v_mul_f32 v[vgprValuC+13], s[sgprAlpha], v[vgprValuC+13] // *= alpha
v_mul_f32 v[vgprValuC+16], s[sgprAlpha], v[vgprValuC+16] // *= alpha
	;; [unrolled: 1-line block ×80, first 2 shown]
s_waitcnt vmcnt(0)                                 // wait C

/* apply mask, calc new C and issue writes */
v_mov_b32 v10, 0x207                               // flag for Nan and +/- inf
v_mov_b32 v8, 0x43700000                           // save 240.0f as max for clipping
v_mov_b32 v9, 0xC3700000                           // save -240.0f as min for clipping
v_cvt_f32_fp8 v6, v12 src0_sel:BYTE_0   // convert fp8 in lo_byte[0] to f32
_v_mac_f32 v[vgprValuC+13], v6, s[sgprBeta]        // finalSum = sum*alpha + C*beta
v_cmp_class_f32 s[54:55], v[vgprValuC+13], v10     // check NaN and +/-INF
v_med3_f32 v6, v[vgprValuC+13], v8, v9             // Clipping f32 value if exceeds the limit
v_cndmask_b32 v6, v6, v[vgprValuC+13], s[54:55]    // 
v_cvt_pk_fp8_f32  v13, v6, v6                      // convert f32 accumulated values to fp8
buffer_store_byte v13, v11, s[sgprSrdD:sgprSrdD+3], 0, offen, offset:0 // store D
v_cvt_f32_fp8 v6, v15 src0_sel:BYTE_0   // convert fp8 in lo_byte[0] to f32
_v_mac_f32 v[vgprValuC+16], v6, s[sgprBeta]        // finalSum = sum*alpha + C*beta
v_cmp_class_f32 s[54:55], v[vgprValuC+16], v10     // check NaN and +/-INF
v_med3_f32 v6, v[vgprValuC+16], v8, v9             // Clipping f32 value if exceeds the limit
v_cndmask_b32 v6, v6, v[vgprValuC+16], s[54:55]    // 
v_cvt_pk_fp8_f32  v16, v6, v6                      // convert f32 accumulated values to fp8
buffer_store_byte v16, v14, s[sgprSrdD:sgprSrdD+3], 0, offen, offset:0 // store D
	;; [unrolled: 7-line block ×29, first 2 shown]
v_cvt_f32_fp8 v6, v99 src0_sel:BYTE_0   // convert fp8 in lo_byte[0] to f32
_v_mac_f32 v[vgprValuC+100], v6, s[sgprBeta]       // finalSum = sum*alpha + C*beta
v_cmp_class_f32 s[54:55], v[vgprValuC+100], v10    // check NaN and +/-INF
v_med3_f32 v6, v[vgprValuC+100], v8, v9            // Clipping f32 value if exceeds the limit
v_cndmask_b32 v6, v6, v[vgprValuC+100], s[54:55]   // 
v_cvt_pk_fp8_f32  v100, v6, v6                     // convert f32 accumulated values to fp8
buffer_store_byte v100, v98, s[sgprSrdD:sgprSrdD+3], 0, offen, offset:0 // store D
v_cvt_f32_fp8 v6, v102 src0_sel:BYTE_0   // convert fp8 in lo_byte[0] to f32
_v_mac_f32 v[vgprValuC+103], v6, s[sgprBeta]       // finalSum = sum*alpha + C*beta
v_cmp_class_f32 s[54:55], v[vgprValuC+103], v10    // check NaN and +/-INF
v_med3_f32 v6, v[vgprValuC+103], v8, v9            // Clipping f32 value if exceeds the limit
v_cndmask_b32 v6, v6, v[vgprValuC+103], s[54:55]   // 
v_cvt_pk_fp8_f32  v103, v6, v6                     // convert f32 accumulated values to fp8
buffer_store_byte v103, v101, s[sgprSrdD:sgprSrdD+3], 0, offen, offset:0 // store D
	;; [unrolled: 7-line block ×51, first 2 shown]
s_nop 0                                            // 1 wait state required when next inst writes vgprs held by previous dwordx4 store inst
/* optSingleColVgpr=0 optSharedColVgpr=0 optSGPRUsage=BufferLoad_Edge_Mask optSrdIncForRow=0 */

/******************************************/
/* Global Write Alpha Beta Edge Batch #2 (d1,d0,vc1,vc0) = */
/*    (5,0,0,0:vw1); (5,0,0,1:vw1); (5,0,1,0:vw1); (5,0,1,1:vw1); (5,0,2,0:vw1); (5,0,2,1:vw1); (5,0,3,0:vw1); (5,0,3,1:vw1); (5,0,4,0:vw1); (5,0,4,1:vw1); (5,0,5,0:vw1); (5,0,5,1:vw1); (5,0,6,0:vw1); (5,0,6,1:vw1); (5,0,7,0:vw1); (5,0,7,1:vw1); (5,0,8,0:vw1); (5,0,8,1:vw1); (5,0,9,0:vw1); (5,0,9,1:vw1); (5,0,10,0:vw1); (5,0,10,1:vw1); (5,0,11,0:vw1); (5,0,11,1:vw1); (5,0,12,0:vw1); (5,0,12,1:vw1); (5,0,13,0:vw1); (5,0,13,1:vw1); (5,0,14,0:vw1); (5,0,14,1:vw1); (5,0,15,0:vw1); (5,0,15,1:vw1); (6,0,0,0:vw1); (6,0,0,1:vw1); (6,0,1,0:vw1); (6,0,1,1:vw1); (6,0,2,0:vw1); (6,0,2,1:vw1); (6,0,3,0:vw1); (6,0,3,1:vw1); (6,0,4,0:vw1); (6,0,4,1:vw1); (6,0,5,0:vw1); (6,0,5,1:vw1); (6,0,6,0:vw1); (6,0,6,1:vw1); (6,0,7,0:vw1); (6,0,7,1:vw1); (6,0,8,0:vw1); (6,0,8,1:vw1); (6,0,9,0:vw1); (6,0,9,1:vw1); (6,0,10,0:vw1); (6,0,10,1:vw1); (6,0,11,0:vw1); (6,0,11,1:vw1); (6,0,12,0:vw1); (6,0,12,1:vw1); (6,0,13,0:vw1); (6,0,13,1:vw1); (6,0,14,0:vw1); (6,0,14,1:vw1); (6,0,15,0:vw1); (6,0,15,1:vw1); (7,0,0,0:vw1); (7,0,0,1:vw1); (7,0,1,0:vw1); (7,0,1,1:vw1); (7,0,2,0:vw1); (7,0,2,1:vw1); (7,0,3,0:vw1); (7,0,3,1:vw1); (7,0,4,0:vw1); (7,0,4,1:vw1); (7,0,5,0:vw1); (7,0,5,1:vw1); (7,0,6,0:vw1); (7,0,6,1:vw1); (7,0,7,0:vw1); (7,0,7,1:vw1) */
/******************************************/

/* calc coords, apply mask, and issue loads (if necessary) */
/* (d1,vc1,d0,vc0)=(5,0,0,0) */
_v_add_co_u32 v1, vcc, v1, 17                      // coord1.1: coord1Vgpr += d1*sg1*VW + vc1

/* Fix for UseInitialStridesCD, emitAddressSetupCode */
s_mul_i32 s54, s[sgprStrideC1J], 17                // scale stride
_v_add_u32 v2, v2, s54                             // ROWINC- Move cinRowPtr to next row
s_mul_i32 s54, s[sgprStrideD1J], 17                // scale stride
_v_add_u32 v3, v3, s54                             // Move coutRowPtr to next row
v_cmp_lt_u32 s[54:55], v0, s[sgprSizeI]            // coord0 < size0
v_cmp_lt_u32 s[58:59], v1, s[sgprSizeJ]            // coord1 < size1
s_and_b64 s[58:59], s[54:55], s[58:59]             // in0 && in1
_v_add_lshl_u32 v11, v2, v0, 0x0                   // scaleToBpe: accumulate d0 lower and *= bpe into Cin addr
v_cndmask_b32 v11, -1, v11, s[58:59]               // LDC clip if OOB. offset
buffer_load_ubyte v12, v11, s[sgprSrdC:sgprSrdC+3], 0, offen offset:0 // load C for beta calc
_v_add_lshl_u32 v11, v3, v0, 0x0                   // scaleToBpe: accumulate d0 lower and *= bpe into Cin addr
v_cndmask_b32 v11, -1, v11, s[58:59]               // LDD clip if OOB. offset
/* (d1,vc1,d0,vc0)=(5,0,0,1) */
_v_add_co_u32 v4, vcc, v0, 1                       // coord0.1: coord0 += d0*sg0*VW + vc0
v_cmp_lt_u32 s[54:55], v4, s[sgprSizeI]            // coord0 < size0
v_cmp_lt_u32 s[58:59], v1, s[sgprSizeJ]            // coord1 < size1
s_and_b64 s[58:59], s[54:55], s[58:59]             // in0 && in1
_v_add_lshl_u32 v14, v2, v4, 0x0                   // scaleToBpe: accumulate d0 lower and *= bpe into Cin addr
v_cndmask_b32 v14, -1, v14, s[58:59]               // LDC clip if OOB. offset
buffer_load_ubyte v15, v14, s[sgprSrdC:sgprSrdC+3], 0, offen offset:0 // load C for beta calc
_v_add_lshl_u32 v14, v3, v4, 0x0                   // scaleToBpe: accumulate d0 lower and *= bpe into Cin addr
v_cndmask_b32 v14, -1, v14, s[58:59]               // LDD clip if OOB. offset
/* (d1,vc1,d0,vc0)=(5,1,0,0) */
_v_add_co_u32 v1, vcc, v1, 1                       // coord1.1: coord1Vgpr += d1*sg1*VW + vc1

/* Fix for UseInitialStridesCD, emitAddressSetupCode */
_v_add_u32 v2, v2, s[sgprStrideC1J]                // ROWINC- Move cinRowPtr to next row
_v_add_u32 v3, v3, s[sgprStrideD1J]                // Move coutRowPtr to next row
v_cmp_lt_u32 s[54:55], v0, s[sgprSizeI]            // coord0 < size0
v_cmp_lt_u32 s[58:59], v1, s[sgprSizeJ]            // coord1 < size1
s_and_b64 s[58:59], s[54:55], s[58:59]             // in0 && in1
_v_add_lshl_u32 v17, v2, v0, 0x0                   // scaleToBpe: accumulate d0 lower and *= bpe into Cin addr
v_cndmask_b32 v17, -1, v17, s[58:59]               // LDC clip if OOB. offset
buffer_load_ubyte v18, v17, s[sgprSrdC:sgprSrdC+3], 0, offen offset:0 // load C for beta calc
_v_add_lshl_u32 v17, v3, v0, 0x0                   // scaleToBpe: accumulate d0 lower and *= bpe into Cin addr
v_cndmask_b32 v17, -1, v17, s[58:59]               // LDD clip if OOB. offset
/* (d1,vc1,d0,vc0)=(5,1,0,1) */
_v_add_co_u32 v4, vcc, v0, 1                       // coord0.1: coord0 += d0*sg0*VW + vc0
v_cmp_lt_u32 s[54:55], v4, s[sgprSizeI]            // coord0 < size0
v_cmp_lt_u32 s[58:59], v1, s[sgprSizeJ]            // coord1 < size1
s_and_b64 s[58:59], s[54:55], s[58:59]             // in0 && in1
_v_add_lshl_u32 v20, v2, v4, 0x0                   // scaleToBpe: accumulate d0 lower and *= bpe into Cin addr
v_cndmask_b32 v20, -1, v20, s[58:59]               // LDC clip if OOB. offset
buffer_load_ubyte v21, v20, s[sgprSrdC:sgprSrdC+3], 0, offen offset:0 // load C for beta calc
_v_add_lshl_u32 v20, v3, v4, 0x0                   // scaleToBpe: accumulate d0 lower and *= bpe into Cin addr
v_cndmask_b32 v20, -1, v20, s[58:59]               // LDD clip if OOB. offset
/* (d1,vc1,d0,vc0)=(5,2,0,0) */
_v_add_co_u32 v1, vcc, v1, 1                       // coord1.1: coord1Vgpr += d1*sg1*VW + vc1

/* Fix for UseInitialStridesCD, emitAddressSetupCode */
_v_add_u32 v2, v2, s[sgprStrideC1J]                // ROWINC- Move cinRowPtr to next row
_v_add_u32 v3, v3, s[sgprStrideD1J]                // Move coutRowPtr to next row
	;; [unrolled: 24-line block ×15, first 2 shown]
v_cmp_lt_u32 s[54:55], v0, s[sgprSizeI]            // coord0 < size0
v_cmp_lt_u32 s[58:59], v1, s[sgprSizeJ]            // coord1 < size1
s_and_b64 s[58:59], s[54:55], s[58:59]             // in0 && in1
_v_add_lshl_u32 v101, v2, v0, 0x0                  // scaleToBpe: accumulate d0 lower and *= bpe into Cin addr
v_cndmask_b32 v101, -1, v101, s[58:59]             // LDC clip if OOB. offset
buffer_load_ubyte v102, v101, s[sgprSrdC:sgprSrdC+3], 0, offen offset:0 // load C for beta calc
_v_add_lshl_u32 v101, v3, v0, 0x0                  // scaleToBpe: accumulate d0 lower and *= bpe into Cin addr
v_cndmask_b32 v101, -1, v101, s[58:59]             // LDD clip if OOB. offset
/* (d1,vc1,d0,vc0)=(5,15,0,1) */
_v_add_co_u32 v4, vcc, v0, 1                       // coord0.1: coord0 += d0*sg0*VW + vc0
v_cmp_lt_u32 s[54:55], v4, s[sgprSizeI]            // coord0 < size0
v_cmp_lt_u32 s[58:59], v1, s[sgprSizeJ]            // coord1 < size1
s_and_b64 s[58:59], s[54:55], s[58:59]             // in0 && in1
_v_add_lshl_u32 v104, v2, v4, 0x0                  // scaleToBpe: accumulate d0 lower and *= bpe into Cin addr
v_cndmask_b32 v104, -1, v104, s[58:59]             // LDC clip if OOB. offset
buffer_load_ubyte v105, v104, s[sgprSrdC:sgprSrdC+3], 0, offen offset:0 // load C for beta calc
_v_add_lshl_u32 v104, v3, v4, 0x0                  // scaleToBpe: accumulate d0 lower and *= bpe into Cin addr
v_cndmask_b32 v104, -1, v104, s[58:59]             // LDD clip if OOB. offset
/* (d1,vc1,d0,vc0)=(6,0,0,0) */
_v_add_co_u32 v1, vcc, v1, 17                      // coord1.1: coord1Vgpr += d1*sg1*VW + vc1

/* Fix for UseInitialStridesCD, emitAddressSetupCode */
s_mul_i32 s54, s[sgprStrideC1J], 17                // scale stride
_v_add_u32 v2, v2, s54                             // ROWINC- Move cinRowPtr to next row
s_mul_i32 s54, s[sgprStrideD1J], 17                // scale stride
_v_add_u32 v3, v3, s54                             // Move coutRowPtr to next row
v_cmp_lt_u32 s[54:55], v0, s[sgprSizeI]            // coord0 < size0
v_cmp_lt_u32 s[58:59], v1, s[sgprSizeJ]            // coord1 < size1
s_and_b64 s[58:59], s[54:55], s[58:59]             // in0 && in1
_v_add_lshl_u32 v107, v2, v0, 0x0                  // scaleToBpe: accumulate d0 lower and *= bpe into Cin addr
v_cndmask_b32 v107, -1, v107, s[58:59]             // LDC clip if OOB. offset
buffer_load_ubyte v108, v107, s[sgprSrdC:sgprSrdC+3], 0, offen offset:0 // load C for beta calc
_v_add_lshl_u32 v107, v3, v0, 0x0                  // scaleToBpe: accumulate d0 lower and *= bpe into Cin addr
v_cndmask_b32 v107, -1, v107, s[58:59]             // LDD clip if OOB. offset
/* (d1,vc1,d0,vc0)=(6,0,0,1) */
_v_add_co_u32 v4, vcc, v0, 1                       // coord0.1: coord0 += d0*sg0*VW + vc0
v_cmp_lt_u32 s[54:55], v4, s[sgprSizeI]            // coord0 < size0
v_cmp_lt_u32 s[58:59], v1, s[sgprSizeJ]            // coord1 < size1
s_and_b64 s[58:59], s[54:55], s[58:59]             // in0 && in1
_v_add_lshl_u32 v110, v2, v4, 0x0                  // scaleToBpe: accumulate d0 lower and *= bpe into Cin addr
v_cndmask_b32 v110, -1, v110, s[58:59]             // LDC clip if OOB. offset
buffer_load_ubyte v111, v110, s[sgprSrdC:sgprSrdC+3], 0, offen offset:0 // load C for beta calc
_v_add_lshl_u32 v110, v3, v4, 0x0                  // scaleToBpe: accumulate d0 lower and *= bpe into Cin addr
v_cndmask_b32 v110, -1, v110, s[58:59]             // LDD clip if OOB. offset
/* (d1,vc1,d0,vc0)=(6,1,0,0) */
_v_add_co_u32 v1, vcc, v1, 1                       // coord1.1: coord1Vgpr += d1*sg1*VW + vc1

/* Fix for UseInitialStridesCD, emitAddressSetupCode */
_v_add_u32 v2, v2, s[sgprStrideC1J]                // ROWINC- Move cinRowPtr to next row
_v_add_u32 v3, v3, s[sgprStrideD1J]                // Move coutRowPtr to next row
v_cmp_lt_u32 s[54:55], v0, s[sgprSizeI]            // coord0 < size0
v_cmp_lt_u32 s[58:59], v1, s[sgprSizeJ]            // coord1 < size1
s_and_b64 s[58:59], s[54:55], s[58:59]             // in0 && in1
_v_add_lshl_u32 v113, v2, v0, 0x0                  // scaleToBpe: accumulate d0 lower and *= bpe into Cin addr
v_cndmask_b32 v113, -1, v113, s[58:59]             // LDC clip if OOB. offset
buffer_load_ubyte v114, v113, s[sgprSrdC:sgprSrdC+3], 0, offen offset:0 // load C for beta calc
_v_add_lshl_u32 v113, v3, v0, 0x0                  // scaleToBpe: accumulate d0 lower and *= bpe into Cin addr
v_cndmask_b32 v113, -1, v113, s[58:59]             // LDD clip if OOB. offset
/* (d1,vc1,d0,vc0)=(6,1,0,1) */
_v_add_co_u32 v4, vcc, v0, 1                       // coord0.1: coord0 += d0*sg0*VW + vc0
v_cmp_lt_u32 s[54:55], v4, s[sgprSizeI]            // coord0 < size0
v_cmp_lt_u32 s[58:59], v1, s[sgprSizeJ]            // coord1 < size1
s_and_b64 s[58:59], s[54:55], s[58:59]             // in0 && in1
_v_add_lshl_u32 v119, v2, v4, 0x0                  // scaleToBpe: accumulate d0 lower and *= bpe into Cin addr
v_cndmask_b32 v119, -1, v119, s[58:59]             // LDC clip if OOB. offset
buffer_load_ubyte v120, v119, s[sgprSrdC:sgprSrdC+3], 0, offen offset:0 // load C for beta calc
_v_add_lshl_u32 v119, v3, v4, 0x0                  // scaleToBpe: accumulate d0 lower and *= bpe into Cin addr
v_cndmask_b32 v119, -1, v119, s[58:59]             // LDD clip if OOB. offset
/* (d1,vc1,d0,vc0)=(6,2,0,0) */
_v_add_co_u32 v1, vcc, v1, 1                       // coord1.1: coord1Vgpr += d1*sg1*VW + vc1

/* Fix for UseInitialStridesCD, emitAddressSetupCode */
_v_add_u32 v2, v2, s[sgprStrideC1J]                // ROWINC- Move cinRowPtr to next row
_v_add_u32 v3, v3, s[sgprStrideD1J]                // Move coutRowPtr to next row
	;; [unrolled: 24-line block ×15, first 2 shown]
v_cmp_lt_u32 s[54:55], v0, s[sgprSizeI]            // coord0 < size0
v_cmp_lt_u32 s[58:59], v1, s[sgprSizeJ]            // coord1 < size1
s_and_b64 s[58:59], s[54:55], s[58:59]             // in0 && in1
_v_add_lshl_u32 v200, v2, v0, 0x0                  // scaleToBpe: accumulate d0 lower and *= bpe into Cin addr
v_cndmask_b32 v200, -1, v200, s[58:59]             // LDC clip if OOB. offset
buffer_load_ubyte v201, v200, s[sgprSrdC:sgprSrdC+3], 0, offen offset:0 // load C for beta calc
_v_add_lshl_u32 v200, v3, v0, 0x0                  // scaleToBpe: accumulate d0 lower and *= bpe into Cin addr
v_cndmask_b32 v200, -1, v200, s[58:59]             // LDD clip if OOB. offset
/* (d1,vc1,d0,vc0)=(6,15,0,1) */
_v_add_co_u32 v4, vcc, v0, 1                       // coord0.1: coord0 += d0*sg0*VW + vc0
v_cmp_lt_u32 s[54:55], v4, s[sgprSizeI]            // coord0 < size0
v_cmp_lt_u32 s[58:59], v1, s[sgprSizeJ]            // coord1 < size1
s_and_b64 s[58:59], s[54:55], s[58:59]             // in0 && in1
_v_add_lshl_u32 v203, v2, v4, 0x0                  // scaleToBpe: accumulate d0 lower and *= bpe into Cin addr
v_cndmask_b32 v203, -1, v203, s[58:59]             // LDC clip if OOB. offset
buffer_load_ubyte v204, v203, s[sgprSrdC:sgprSrdC+3], 0, offen offset:0 // load C for beta calc
_v_add_lshl_u32 v203, v3, v4, 0x0                  // scaleToBpe: accumulate d0 lower and *= bpe into Cin addr
v_cndmask_b32 v203, -1, v203, s[58:59]             // LDD clip if OOB. offset
/* (d1,vc1,d0,vc0)=(7,0,0,0) */
_v_add_co_u32 v1, vcc, v1, 17                      // coord1.1: coord1Vgpr += d1*sg1*VW + vc1

/* Fix for UseInitialStridesCD, emitAddressSetupCode */
s_mul_i32 s54, s[sgprStrideC1J], 17                // scale stride
_v_add_u32 v2, v2, s54                             // ROWINC- Move cinRowPtr to next row
s_mul_i32 s54, s[sgprStrideD1J], 17                // scale stride
_v_add_u32 v3, v3, s54                             // Move coutRowPtr to next row
v_cmp_lt_u32 s[54:55], v0, s[sgprSizeI]            // coord0 < size0
v_cmp_lt_u32 s[58:59], v1, s[sgprSizeJ]            // coord1 < size1
s_and_b64 s[58:59], s[54:55], s[58:59]             // in0 && in1
_v_add_lshl_u32 v206, v2, v0, 0x0                  // scaleToBpe: accumulate d0 lower and *= bpe into Cin addr
v_cndmask_b32 v206, -1, v206, s[58:59]             // LDC clip if OOB. offset
buffer_load_ubyte v207, v206, s[sgprSrdC:sgprSrdC+3], 0, offen offset:0 // load C for beta calc
_v_add_lshl_u32 v206, v3, v0, 0x0                  // scaleToBpe: accumulate d0 lower and *= bpe into Cin addr
v_cndmask_b32 v206, -1, v206, s[58:59]             // LDD clip if OOB. offset
/* (d1,vc1,d0,vc0)=(7,0,0,1) */
_v_add_co_u32 v4, vcc, v0, 1                       // coord0.1: coord0 += d0*sg0*VW + vc0
v_cmp_lt_u32 s[54:55], v4, s[sgprSizeI]            // coord0 < size0
v_cmp_lt_u32 s[58:59], v1, s[sgprSizeJ]            // coord1 < size1
s_and_b64 s[58:59], s[54:55], s[58:59]             // in0 && in1
_v_add_lshl_u32 v209, v2, v4, 0x0                  // scaleToBpe: accumulate d0 lower and *= bpe into Cin addr
v_cndmask_b32 v209, -1, v209, s[58:59]             // LDC clip if OOB. offset
buffer_load_ubyte v210, v209, s[sgprSrdC:sgprSrdC+3], 0, offen offset:0 // load C for beta calc
_v_add_lshl_u32 v209, v3, v4, 0x0                  // scaleToBpe: accumulate d0 lower and *= bpe into Cin addr
v_cndmask_b32 v209, -1, v209, s[58:59]             // LDD clip if OOB. offset
/* (d1,vc1,d0,vc0)=(7,1,0,0) */
_v_add_co_u32 v1, vcc, v1, 1                       // coord1.1: coord1Vgpr += d1*sg1*VW + vc1

/* Fix for UseInitialStridesCD, emitAddressSetupCode */
_v_add_u32 v2, v2, s[sgprStrideC1J]                // ROWINC- Move cinRowPtr to next row
_v_add_u32 v3, v3, s[sgprStrideD1J]                // Move coutRowPtr to next row
v_cmp_lt_u32 s[54:55], v0, s[sgprSizeI]            // coord0 < size0
v_cmp_lt_u32 s[58:59], v1, s[sgprSizeJ]            // coord1 < size1
s_and_b64 s[58:59], s[54:55], s[58:59]             // in0 && in1
_v_add_lshl_u32 v212, v2, v0, 0x0                  // scaleToBpe: accumulate d0 lower and *= bpe into Cin addr
v_cndmask_b32 v212, -1, v212, s[58:59]             // LDC clip if OOB. offset
buffer_load_ubyte v213, v212, s[sgprSrdC:sgprSrdC+3], 0, offen offset:0 // load C for beta calc
_v_add_lshl_u32 v212, v3, v0, 0x0                  // scaleToBpe: accumulate d0 lower and *= bpe into Cin addr
v_cndmask_b32 v212, -1, v212, s[58:59]             // LDD clip if OOB. offset
/* (d1,vc1,d0,vc0)=(7,1,0,1) */
_v_add_co_u32 v4, vcc, v0, 1                       // coord0.1: coord0 += d0*sg0*VW + vc0
v_cmp_lt_u32 s[54:55], v4, s[sgprSizeI]            // coord0 < size0
v_cmp_lt_u32 s[58:59], v1, s[sgprSizeJ]            // coord1 < size1
s_and_b64 s[58:59], s[54:55], s[58:59]             // in0 && in1
_v_add_lshl_u32 v215, v2, v4, 0x0                  // scaleToBpe: accumulate d0 lower and *= bpe into Cin addr
v_cndmask_b32 v215, -1, v215, s[58:59]             // LDC clip if OOB. offset
buffer_load_ubyte v216, v215, s[sgprSrdC:sgprSrdC+3], 0, offen offset:0 // load C for beta calc
_v_add_lshl_u32 v215, v3, v4, 0x0                  // scaleToBpe: accumulate d0 lower and *= bpe into Cin addr
v_cndmask_b32 v215, -1, v215, s[58:59]             // LDD clip if OOB. offset
/* (d1,vc1,d0,vc0)=(7,2,0,0) */
_v_add_co_u32 v1, vcc, v1, 1                       // coord1.1: coord1Vgpr += d1*sg1*VW + vc1

/* Fix for UseInitialStridesCD, emitAddressSetupCode */
_v_add_u32 v2, v2, s[sgprStrideC1J]                // ROWINC- Move cinRowPtr to next row
_v_add_u32 v3, v3, s[sgprStrideD1J]                // Move coutRowPtr to next row
	;; [unrolled: 24-line block ×7, first 2 shown]
v_cmp_lt_u32 s[54:55], v0, s[sgprSizeI]            // coord0 < size0
v_cmp_lt_u32 s[58:59], v1, s[sgprSizeJ]            // coord1 < size1
s_and_b64 s[58:59], s[54:55], s[58:59]             // in0 && in1
_v_add_lshl_u32 v248, v2, v0, 0x0                  // scaleToBpe: accumulate d0 lower and *= bpe into Cin addr
v_cndmask_b32 v248, -1, v248, s[58:59]             // LDC clip if OOB. offset
buffer_load_ubyte v249, v248, s[sgprSrdC:sgprSrdC+3], 0, offen offset:0 // load C for beta calc
_v_add_lshl_u32 v248, v3, v0, 0x0                  // scaleToBpe: accumulate d0 lower and *= bpe into Cin addr
v_cndmask_b32 v248, -1, v248, s[58:59]             // LDD clip if OOB. offset
/* (d1,vc1,d0,vc0)=(7,7,0,1) */
_v_add_co_u32 v4, vcc, v0, 1                       // coord0.1: coord0 += d0*sg0*VW + vc0
v_cmp_lt_u32 s[54:55], v4, s[sgprSizeI]            // coord0 < size0
v_cmp_lt_u32 s[58:59], v1, s[sgprSizeJ]            // coord1 < size1
s_and_b64 s[58:59], s[54:55], s[58:59]             // in0 && in1
_v_add_lshl_u32 v251, v2, v4, 0x0                  // scaleToBpe: accumulate d0 lower and *= bpe into Cin addr
v_cndmask_b32 v251, -1, v251, s[58:59]             // LDC clip if OOB. offset
buffer_load_ubyte v252, v251, s[sgprSrdC:sgprSrdC+3], 0, offen offset:0 // load C for beta calc
_v_add_lshl_u32 v251, v3, v4, 0x0                  // scaleToBpe: accumulate d0 lower and *= bpe into Cin addr
v_cndmask_b32 v251, -1, v251, s[58:59]             // LDD clip if OOB. offset
v_accvgpr_read_b32 v[vgprValuC+13], acc132 // copy acc to vreg[160]
v_accvgpr_read_b32 v[vgprValuC+16], acc148 // copy acc to vreg[161]
v_accvgpr_read_b32 v[vgprValuC+19], acc164 // copy acc to vreg[162]
v_accvgpr_read_b32 v[vgprValuC+22], acc180 // copy acc to vreg[163]
v_accvgpr_read_b32 v[vgprValuC+25], acc196 // copy acc to vreg[164]
v_accvgpr_read_b32 v[vgprValuC+28], acc212 // copy acc to vreg[165]
v_accvgpr_read_b32 v[vgprValuC+31], acc228 // copy acc to vreg[166]
v_accvgpr_read_b32 v[vgprValuC+34], acc244 // copy acc to vreg[167]
v_accvgpr_read_b32 v[vgprValuC+37], acc133 // copy acc to vreg[168]
v_accvgpr_read_b32 v[vgprValuC+40], acc149 // copy acc to vreg[169]
v_accvgpr_read_b32 v[vgprValuC+43], acc165 // copy acc to vreg[170]
v_accvgpr_read_b32 v[vgprValuC+46], acc181 // copy acc to vreg[171]
v_accvgpr_read_b32 v[vgprValuC+49], acc197 // copy acc to vreg[172]
v_accvgpr_read_b32 v[vgprValuC+52], acc213 // copy acc to vreg[173]
v_accvgpr_read_b32 v[vgprValuC+55], acc229 // copy acc to vreg[174]
v_accvgpr_read_b32 v[vgprValuC+58], acc245 // copy acc to vreg[175]
v_accvgpr_read_b32 v[vgprValuC+61], acc134 // copy acc to vreg[176]
v_accvgpr_read_b32 v[vgprValuC+64], acc150 // copy acc to vreg[177]
v_accvgpr_read_b32 v[vgprValuC+67], acc166 // copy acc to vreg[178]
v_accvgpr_read_b32 v[vgprValuC+70], acc182 // copy acc to vreg[179]
v_accvgpr_read_b32 v[vgprValuC+73], acc198 // copy acc to vreg[180]
v_accvgpr_read_b32 v[vgprValuC+76], acc214 // copy acc to vreg[181]
v_accvgpr_read_b32 v[vgprValuC+79], acc230 // copy acc to vreg[182]
v_accvgpr_read_b32 v[vgprValuC+82], acc246 // copy acc to vreg[183]
v_accvgpr_read_b32 v[vgprValuC+85], acc135 // copy acc to vreg[184]
v_accvgpr_read_b32 v[vgprValuC+88], acc151 // copy acc to vreg[185]
v_accvgpr_read_b32 v[vgprValuC+91], acc167 // copy acc to vreg[186]
v_accvgpr_read_b32 v[vgprValuC+94], acc183 // copy acc to vreg[187]
v_accvgpr_read_b32 v[vgprValuC+97], acc199 // copy acc to vreg[188]
v_accvgpr_read_b32 v[vgprValuC+100], acc215 // copy acc to vreg[189]
v_accvgpr_read_b32 v[vgprValuC+103], acc231 // copy acc to vreg[190]
v_accvgpr_read_b32 v[vgprValuC+106], acc247 // copy acc to vreg[191]
v_accvgpr_read_b32 v[vgprValuC+109], acc136 // copy acc to vreg[192]
v_accvgpr_read_b32 v[vgprValuC+112], acc152 // copy acc to vreg[193]
v_accvgpr_read_b32 v[vgprValuC+115], acc168 // copy acc to vreg[194]
v_accvgpr_read_b32 v[vgprValuC+121], acc184 // copy acc to vreg[195]
v_accvgpr_read_b32 v[vgprValuC+124], acc200 // copy acc to vreg[196]
v_accvgpr_read_b32 v[vgprValuC+127], acc216 // copy acc to vreg[197]
v_accvgpr_read_b32 v[vgprValuC+130], acc232 // copy acc to vreg[198]
v_accvgpr_read_b32 v[vgprValuC+133], acc248 // copy acc to vreg[199]
v_accvgpr_read_b32 v[vgprValuC+136], acc137 // copy acc to vreg[200]
v_accvgpr_read_b32 v[vgprValuC+139], acc153 // copy acc to vreg[201]
v_accvgpr_read_b32 v[vgprValuC+142], acc169 // copy acc to vreg[202]
v_accvgpr_read_b32 v[vgprValuC+145], acc185 // copy acc to vreg[203]
v_accvgpr_read_b32 v[vgprValuC+148], acc201 // copy acc to vreg[204]
v_accvgpr_read_b32 v[vgprValuC+151], acc217 // copy acc to vreg[205]
v_accvgpr_read_b32 v[vgprValuC+154], acc233 // copy acc to vreg[206]
v_accvgpr_read_b32 v[vgprValuC+157], acc249 // copy acc to vreg[207]
v_accvgpr_read_b32 v[vgprValuC+160], acc138 // copy acc to vreg[208]
v_accvgpr_read_b32 v[vgprValuC+163], acc154 // copy acc to vreg[209]
v_accvgpr_read_b32 v[vgprValuC+166], acc170 // copy acc to vreg[210]
v_accvgpr_read_b32 v[vgprValuC+169], acc186 // copy acc to vreg[211]
v_accvgpr_read_b32 v[vgprValuC+172], acc202 // copy acc to vreg[212]
v_accvgpr_read_b32 v[vgprValuC+175], acc218 // copy acc to vreg[213]
v_accvgpr_read_b32 v[vgprValuC+178], acc234 // copy acc to vreg[214]
v_accvgpr_read_b32 v[vgprValuC+181], acc250 // copy acc to vreg[215]
v_accvgpr_read_b32 v[vgprValuC+184], acc139 // copy acc to vreg[216]
v_accvgpr_read_b32 v[vgprValuC+187], acc155 // copy acc to vreg[217]
v_accvgpr_read_b32 v[vgprValuC+190], acc171 // copy acc to vreg[218]
v_accvgpr_read_b32 v[vgprValuC+193], acc187 // copy acc to vreg[219]
v_accvgpr_read_b32 v[vgprValuC+196], acc203 // copy acc to vreg[220]
v_accvgpr_read_b32 v[vgprValuC+199], acc219 // copy acc to vreg[221]
v_accvgpr_read_b32 v[vgprValuC+202], acc235 // copy acc to vreg[222]
v_accvgpr_read_b32 v[vgprValuC+205], acc251 // copy acc to vreg[223]
v_accvgpr_read_b32 v[vgprValuC+208], acc140 // copy acc to vreg[224]
v_accvgpr_read_b32 v[vgprValuC+211], acc156 // copy acc to vreg[225]
v_accvgpr_read_b32 v[vgprValuC+214], acc172 // copy acc to vreg[226]
v_accvgpr_read_b32 v[vgprValuC+217], acc188 // copy acc to vreg[227]
v_accvgpr_read_b32 v[vgprValuC+220], acc204 // copy acc to vreg[228]
v_accvgpr_read_b32 v[vgprValuC+223], acc220 // copy acc to vreg[229]
v_accvgpr_read_b32 v[vgprValuC+226], acc236 // copy acc to vreg[230]
v_accvgpr_read_b32 v[vgprValuC+229], acc252 // copy acc to vreg[231]
v_accvgpr_read_b32 v[vgprValuC+232], acc141 // copy acc to vreg[232]
v_accvgpr_read_b32 v[vgprValuC+235], acc157 // copy acc to vreg[233]
v_accvgpr_read_b32 v[vgprValuC+238], acc173 // copy acc to vreg[234]
v_accvgpr_read_b32 v[vgprValuC+241], acc189 // copy acc to vreg[235]
v_accvgpr_read_b32 v[vgprValuC+244], acc205 // copy acc to vreg[236]
v_accvgpr_read_b32 v[vgprValuC+247], acc221 // copy acc to vreg[237]
v_accvgpr_read_b32 v[vgprValuC+250], acc237 // copy acc to vreg[238]
v_accvgpr_read_b32 v[vgprValuC+253], acc253 // copy acc to vreg[239]
s_nop 1                                            // 2 wait states required before reading vgpr

/* rC *= alpha batchElements=[(5, 0, 0, 0), (5, 0, 0, 1), (5, 0, 1, 0), (5, 0, 1, 1), (5, 0, 2, 0), (5, 0, 2, 1), (5, 0, 3, 0), (5, 0, 3, 1), (5, 0, 4, 0), (5, 0, 4, 1), (5, 0, 5, 0), (5, 0, 5, 1), (5, 0, 6, 0), (5, 0, 6, 1), (5, 0, 7, 0), (5, 0, 7, 1), (5, 0, 8, 0), (5, 0, 8, 1), (5, 0, 9, 0), (5, 0, 9, 1), (5, 0, 10, 0), (5, 0, 10, 1), (5, 0, 11, 0), (5, 0, 11, 1), (5, 0, 12, 0), (5, 0, 12, 1), (5, 0, 13, 0), (5, 0, 13, 1), (5, 0, 14, 0), (5, 0, 14, 1), (5, 0, 15, 0), (5, 0, 15, 1), (6, 0, 0, 0), (6, 0, 0, 1), (6, 0, 1, 0), (6, 0, 1, 1), (6, 0, 2, 0), (6, 0, 2, 1), (6, 0, 3, 0), (6, 0, 3, 1), (6, 0, 4, 0), (6, 0, 4, 1), (6, 0, 5, 0), (6, 0, 5, 1), (6, 0, 6, 0), (6, 0, 6, 1), (6, 0, 7, 0), (6, 0, 7, 1), (6, 0, 8, 0), (6, 0, 8, 1), (6, 0, 9, 0), (6, 0, 9, 1), (6, 0, 10, 0), (6, 0, 10, 1), (6, 0, 11, 0), (6, 0, 11, 1), (6, 0, 12, 0), (6, 0, 12, 1), (6, 0, 13, 0), (6, 0, 13, 1), (6, 0, 14, 0), (6, 0, 14, 1), (6, 0, 15, 0), (6, 0, 15, 1), (7, 0, 0, 0), (7, 0, 0, 1), (7, 0, 1, 0), (7, 0, 1, 1), (7, 0, 2, 0), (7, 0, 2, 1), (7, 0, 3, 0), (7, 0, 3, 1), (7, 0, 4, 0), (7, 0, 4, 1), (7, 0, 5, 0), (7, 0, 5, 1), (7, 0, 6, 0), (7, 0, 6, 1), (7, 0, 7, 0), (7, 0, 7, 1)] */
v_mul_f32 v[vgprValuC+13], s[sgprAlpha], v[vgprValuC+13] // *= alpha
v_mul_f32 v[vgprValuC+16], s[sgprAlpha], v[vgprValuC+16] // *= alpha
	;; [unrolled: 1-line block ×80, first 2 shown]
s_waitcnt vmcnt(0)                                 // wait C

/* apply mask, calc new C and issue writes */
v_mov_b32 v10, 0x207                               // flag for Nan and +/- inf
v_mov_b32 v8, 0x43700000                           // save 240.0f as max for clipping
v_mov_b32 v9, 0xC3700000                           // save -240.0f as min for clipping
v_cvt_f32_fp8 v6, v12 src0_sel:BYTE_0   // convert fp8 in lo_byte[0] to f32
_v_mac_f32 v[vgprValuC+13], v6, s[sgprBeta]        // finalSum = sum*alpha + C*beta
v_cmp_class_f32 s[54:55], v[vgprValuC+13], v10     // check NaN and +/-INF
v_med3_f32 v6, v[vgprValuC+13], v8, v9             // Clipping f32 value if exceeds the limit
v_cndmask_b32 v6, v6, v[vgprValuC+13], s[54:55]    // 
v_cvt_pk_fp8_f32  v13, v6, v6                      // convert f32 accumulated values to fp8
buffer_store_byte v13, v11, s[sgprSrdD:sgprSrdD+3], 0, offen, offset:0 // store D
v_cvt_f32_fp8 v6, v15 src0_sel:BYTE_0   // convert fp8 in lo_byte[0] to f32
_v_mac_f32 v[vgprValuC+16], v6, s[sgprBeta]        // finalSum = sum*alpha + C*beta
v_cmp_class_f32 s[54:55], v[vgprValuC+16], v10     // check NaN and +/-INF
v_med3_f32 v6, v[vgprValuC+16], v8, v9             // Clipping f32 value if exceeds the limit
v_cndmask_b32 v6, v6, v[vgprValuC+16], s[54:55]    // 
v_cvt_pk_fp8_f32  v16, v6, v6                      // convert f32 accumulated values to fp8
buffer_store_byte v16, v14, s[sgprSrdD:sgprSrdD+3], 0, offen, offset:0 // store D
	;; [unrolled: 7-line block ×29, first 2 shown]
v_cvt_f32_fp8 v6, v99 src0_sel:BYTE_0   // convert fp8 in lo_byte[0] to f32
_v_mac_f32 v[vgprValuC+100], v6, s[sgprBeta]       // finalSum = sum*alpha + C*beta
v_cmp_class_f32 s[54:55], v[vgprValuC+100], v10    // check NaN and +/-INF
v_med3_f32 v6, v[vgprValuC+100], v8, v9            // Clipping f32 value if exceeds the limit
v_cndmask_b32 v6, v6, v[vgprValuC+100], s[54:55]   // 
v_cvt_pk_fp8_f32  v100, v6, v6                     // convert f32 accumulated values to fp8
buffer_store_byte v100, v98, s[sgprSrdD:sgprSrdD+3], 0, offen, offset:0 // store D
v_cvt_f32_fp8 v6, v102 src0_sel:BYTE_0   // convert fp8 in lo_byte[0] to f32
_v_mac_f32 v[vgprValuC+103], v6, s[sgprBeta]       // finalSum = sum*alpha + C*beta
v_cmp_class_f32 s[54:55], v[vgprValuC+103], v10    // check NaN and +/-INF
v_med3_f32 v6, v[vgprValuC+103], v8, v9            // Clipping f32 value if exceeds the limit
v_cndmask_b32 v6, v6, v[vgprValuC+103], s[54:55]   // 
v_cvt_pk_fp8_f32  v103, v6, v6                     // convert f32 accumulated values to fp8
buffer_store_byte v103, v101, s[sgprSrdD:sgprSrdD+3], 0, offen, offset:0 // store D
	;; [unrolled: 7-line block ×51, first 2 shown]
s_nop 0                                            // 1 wait state required when next inst writes vgprs held by previous dwordx4 store inst
/* optSingleColVgpr=0 optSharedColVgpr=0 optSGPRUsage=BufferLoad_Edge_Mask optSrdIncForRow=0 */

/******************************************/
/* Global Write Alpha Beta Edge Batch #3 (d1,d0,vc1,vc0) = */
/*    (7,0,8,0:vw1); (7,0,8,1:vw1); (7,0,9,0:vw1); (7,0,9,1:vw1); (7,0,10,0:vw1); (7,0,10,1:vw1); (7,0,11,0:vw1); (7,0,11,1:vw1); (7,0,12,0:vw1); (7,0,12,1:vw1); (7,0,13,0:vw1); (7,0,13,1:vw1); (7,0,14,0:vw1); (7,0,14,1:vw1); (7,0,15,0:vw1); (7,0,15,1:vw1) */
/******************************************/

/* calc coords, apply mask, and issue loads (if necessary) */
/* (d1,vc1,d0,vc0)=(7,8,0,0) */
_v_add_co_u32 v1, vcc, v1, 1                       // coord1.1: coord1Vgpr += d1*sg1*VW + vc1

/* Fix for UseInitialStridesCD, emitAddressSetupCode */
_v_add_u32 v2, v2, s[sgprStrideC1J]                // ROWINC- Move cinRowPtr to next row
_v_add_u32 v3, v3, s[sgprStrideD1J]                // Move coutRowPtr to next row
v_cmp_lt_u32 s[54:55], v0, s[sgprSizeI]            // coord0 < size0
v_cmp_lt_u32 s[58:59], v1, s[sgprSizeJ]            // coord1 < size1
s_and_b64 s[58:59], s[54:55], s[58:59]             // in0 && in1
_v_add_lshl_u32 v11, v2, v0, 0x0                   // scaleToBpe: accumulate d0 lower and *= bpe into Cin addr
v_cndmask_b32 v11, -1, v11, s[58:59]               // LDC clip if OOB. offset
buffer_load_ubyte v12, v11, s[sgprSrdC:sgprSrdC+3], 0, offen offset:0 // load C for beta calc
_v_add_lshl_u32 v11, v3, v0, 0x0                   // scaleToBpe: accumulate d0 lower and *= bpe into Cin addr
v_cndmask_b32 v11, -1, v11, s[58:59]               // LDD clip if OOB. offset
/* (d1,vc1,d0,vc0)=(7,8,0,1) */
_v_add_co_u32 v4, vcc, v0, 1                       // coord0.1: coord0 += d0*sg0*VW + vc0
v_cmp_lt_u32 s[54:55], v4, s[sgprSizeI]            // coord0 < size0
v_cmp_lt_u32 s[58:59], v1, s[sgprSizeJ]            // coord1 < size1
s_and_b64 s[58:59], s[54:55], s[58:59]             // in0 && in1
_v_add_lshl_u32 v14, v2, v4, 0x0                   // scaleToBpe: accumulate d0 lower and *= bpe into Cin addr
v_cndmask_b32 v14, -1, v14, s[58:59]               // LDC clip if OOB. offset
buffer_load_ubyte v15, v14, s[sgprSrdC:sgprSrdC+3], 0, offen offset:0 // load C for beta calc
_v_add_lshl_u32 v14, v3, v4, 0x0                   // scaleToBpe: accumulate d0 lower and *= bpe into Cin addr
v_cndmask_b32 v14, -1, v14, s[58:59]               // LDD clip if OOB. offset
/* (d1,vc1,d0,vc0)=(7,9,0,0) */
_v_add_co_u32 v1, vcc, v1, 1                       // coord1.1: coord1Vgpr += d1*sg1*VW + vc1

/* Fix for UseInitialStridesCD, emitAddressSetupCode */
_v_add_u32 v2, v2, s[sgprStrideC1J]                // ROWINC- Move cinRowPtr to next row
_v_add_u32 v3, v3, s[sgprStrideD1J]                // Move coutRowPtr to next row
v_cmp_lt_u32 s[54:55], v0, s[sgprSizeI]            // coord0 < size0
v_cmp_lt_u32 s[58:59], v1, s[sgprSizeJ]            // coord1 < size1
s_and_b64 s[58:59], s[54:55], s[58:59]             // in0 && in1
_v_add_lshl_u32 v17, v2, v0, 0x0                   // scaleToBpe: accumulate d0 lower and *= bpe into Cin addr
v_cndmask_b32 v17, -1, v17, s[58:59]               // LDC clip if OOB. offset
buffer_load_ubyte v18, v17, s[sgprSrdC:sgprSrdC+3], 0, offen offset:0 // load C for beta calc
_v_add_lshl_u32 v17, v3, v0, 0x0                   // scaleToBpe: accumulate d0 lower and *= bpe into Cin addr
v_cndmask_b32 v17, -1, v17, s[58:59]               // LDD clip if OOB. offset
/* (d1,vc1,d0,vc0)=(7,9,0,1) */
_v_add_co_u32 v4, vcc, v0, 1                       // coord0.1: coord0 += d0*sg0*VW + vc0
v_cmp_lt_u32 s[54:55], v4, s[sgprSizeI]            // coord0 < size0
v_cmp_lt_u32 s[58:59], v1, s[sgprSizeJ]            // coord1 < size1
s_and_b64 s[58:59], s[54:55], s[58:59]             // in0 && in1
_v_add_lshl_u32 v20, v2, v4, 0x0                   // scaleToBpe: accumulate d0 lower and *= bpe into Cin addr
v_cndmask_b32 v20, -1, v20, s[58:59]               // LDC clip if OOB. offset
buffer_load_ubyte v21, v20, s[sgprSrdC:sgprSrdC+3], 0, offen offset:0 // load C for beta calc
_v_add_lshl_u32 v20, v3, v4, 0x0                   // scaleToBpe: accumulate d0 lower and *= bpe into Cin addr
v_cndmask_b32 v20, -1, v20, s[58:59]               // LDD clip if OOB. offset
	;; [unrolled: 24-line block ×8, first 2 shown]
v_accvgpr_read_b32 v[vgprValuC+13], acc142 // copy acc to vreg[240]
v_accvgpr_read_b32 v[vgprValuC+16], acc158 // copy acc to vreg[241]
v_accvgpr_read_b32 v[vgprValuC+19], acc174 // copy acc to vreg[242]
v_accvgpr_read_b32 v[vgprValuC+22], acc190 // copy acc to vreg[243]
v_accvgpr_read_b32 v[vgprValuC+25], acc206 // copy acc to vreg[244]
v_accvgpr_read_b32 v[vgprValuC+28], acc222 // copy acc to vreg[245]
v_accvgpr_read_b32 v[vgprValuC+31], acc238 // copy acc to vreg[246]
v_accvgpr_read_b32 v[vgprValuC+34], acc254 // copy acc to vreg[247]
v_accvgpr_read_b32 v[vgprValuC+37], acc143 // copy acc to vreg[248]
v_accvgpr_read_b32 v[vgprValuC+40], acc159 // copy acc to vreg[249]
v_accvgpr_read_b32 v[vgprValuC+43], acc175 // copy acc to vreg[250]
v_accvgpr_read_b32 v[vgprValuC+46], acc191 // copy acc to vreg[251]
v_accvgpr_read_b32 v[vgprValuC+49], acc207 // copy acc to vreg[252]
v_accvgpr_read_b32 v[vgprValuC+52], acc223 // copy acc to vreg[253]
v_accvgpr_read_b32 v[vgprValuC+55], acc239 // copy acc to vreg[254]
v_accvgpr_read_b32 v[vgprValuC+58], acc255 // copy acc to vreg[255]
s_nop 1                                            // 2 wait states required before reading vgpr

/* rC *= alpha batchElements=[(7, 0, 8, 0), (7, 0, 8, 1), (7, 0, 9, 0), (7, 0, 9, 1), (7, 0, 10, 0), (7, 0, 10, 1), (7, 0, 11, 0), (7, 0, 11, 1), (7, 0, 12, 0), (7, 0, 12, 1), (7, 0, 13, 0), (7, 0, 13, 1), (7, 0, 14, 0), (7, 0, 14, 1), (7, 0, 15, 0), (7, 0, 15, 1)] */
v_mul_f32 v[vgprValuC+13], s[sgprAlpha], v[vgprValuC+13] // *= alpha
v_mul_f32 v[vgprValuC+16], s[sgprAlpha], v[vgprValuC+16] // *= alpha
	;; [unrolled: 1-line block ×16, first 2 shown]
s_waitcnt vmcnt(0)                                 // wait C

/* apply mask, calc new C and issue writes */
v_mov_b32 v10, 0x207                               // flag for Nan and +/- inf
v_mov_b32 v8, 0x43700000                           // save 240.0f as max for clipping
v_mov_b32 v9, 0xC3700000                           // save -240.0f as min for clipping
v_cvt_f32_fp8 v6, v12 src0_sel:BYTE_0   // convert fp8 in lo_byte[0] to f32
_v_mac_f32 v[vgprValuC+13], v6, s[sgprBeta]        // finalSum = sum*alpha + C*beta
v_cmp_class_f32 s[54:55], v[vgprValuC+13], v10     // check NaN and +/-INF
v_med3_f32 v6, v[vgprValuC+13], v8, v9             // Clipping f32 value if exceeds the limit
v_cndmask_b32 v6, v6, v[vgprValuC+13], s[54:55]    // 
v_cvt_pk_fp8_f32  v13, v6, v6                      // convert f32 accumulated values to fp8
buffer_store_byte v13, v11, s[sgprSrdD:sgprSrdD+3], 0, offen, offset:0 // store D
v_cvt_f32_fp8 v6, v15 src0_sel:BYTE_0   // convert fp8 in lo_byte[0] to f32
_v_mac_f32 v[vgprValuC+16], v6, s[sgprBeta]        // finalSum = sum*alpha + C*beta
v_cmp_class_f32 s[54:55], v[vgprValuC+16], v10     // check NaN and +/-INF
v_med3_f32 v6, v[vgprValuC+16], v8, v9             // Clipping f32 value if exceeds the limit
v_cndmask_b32 v6, v6, v[vgprValuC+16], s[54:55]    // 
v_cvt_pk_fp8_f32  v16, v6, v6                      // convert f32 accumulated values to fp8
buffer_store_byte v16, v14, s[sgprSrdD:sgprSrdD+3], 0, offen, offset:0 // store D
	;; [unrolled: 7-line block ×16, first 2 shown]
s_nop 0                                            // 1 wait state required when next inst writes vgprs held by previous dwordx4 store inst
s_branch label_GW_End_44                           // jump to end
label_GW_End_44:

label_0049:  /// KernelEnd
s_endpgm                                           // Kernel End

